;; amdgpu-corpus repo=ROCm/rocFFT kind=compiled arch=gfx1030 opt=O3
	.text
	.amdgcn_target "amdgcn-amd-amdhsa--gfx1030"
	.amdhsa_code_object_version 6
	.protected	bluestein_single_fwd_len4050_dim1_sp_op_CI_CI ; -- Begin function bluestein_single_fwd_len4050_dim1_sp_op_CI_CI
	.globl	bluestein_single_fwd_len4050_dim1_sp_op_CI_CI
	.p2align	8
	.type	bluestein_single_fwd_len4050_dim1_sp_op_CI_CI,@function
bluestein_single_fwd_len4050_dim1_sp_op_CI_CI: ; @bluestein_single_fwd_len4050_dim1_sp_op_CI_CI
; %bb.0:
	s_load_dwordx4 s[12:15], s[4:5], 0x28
	v_mul_u32_u24_e32 v1, 0x1e6, v0
	s_mov_b64 s[22:23], s[2:3]
	s_mov_b64 s[20:21], s[0:1]
	v_mov_b32_e32 v2, 0
	s_add_u32 s20, s20, s7
	v_lshrrev_b32_e32 v3, 16, v1
	s_addc_u32 s21, s21, 0
	s_mov_b32 s0, exec_lo
	v_add_nc_u32_e32 v1, s6, v3
	s_waitcnt lgkmcnt(0)
	v_cmpx_gt_u64_e64 s[12:13], v[1:2]
	s_cbranch_execz .LBB0_2
; %bb.1:
	s_clause 0x2
	s_load_dwordx4 s[8:11], s[4:5], 0x0
	s_load_dwordx4 s[16:19], s[4:5], 0x18
	s_load_dwordx2 s[12:13], s[4:5], 0x38
	v_mul_lo_u16 v2, 0x87, v3
	v_mov_b32_e32 v204, 3
	v_sub_nc_u16 v203, v0, v2
	v_and_b32_e32 v42, 0xffff, v203
	v_lshlrev_b32_e32 v80, 3, v42
	v_add_co_u32 v234, null, 0x32a, v42
	s_waitcnt lgkmcnt(0)
	s_load_dwordx4 s[0:3], s[18:19], 0x0
	v_add_co_u32 v236, null, 0x4bf, v42
	v_add_nc_u32_e32 v246, 0x3000, v80
	v_add_nc_u32_e32 v224, 0x4a00, v80
	;; [unrolled: 1-line block ×6, first 2 shown]
	v_add_co_u32 v252, null, 0x21c, v42
	v_add_co_u32 v238, null, 0x3b1, v42
	;; [unrolled: 1-line block ×5, first 2 shown]
	v_mov_b32_e32 v171, v42
	s_waitcnt lgkmcnt(0)
	v_mad_u64_u32 v[4:5], null, s2, v1, 0
	v_add_co_u32 v242, s2, s8, v80
	v_add_co_ci_u32_e64 v243, null, s9, 0, s2
	v_add_co_u32 v202, s2, 0x195, v42
	v_mov_b32_e32 v0, v5
	v_add_co_ci_u32_e64 v162, null, 0, 0, s2
	v_lshrrev_b16 v128, 1, v164
	v_lshrrev_b16 v141, 1, v252
	v_mad_u64_u32 v[2:3], null, s3, v1, v[0:1]
	v_lshrrev_b16 v129, 1, v251
	v_lshrrev_b16 v130, 1, v234
	;; [unrolled: 1-line block ×5, first 2 shown]
	v_mov_b32_e32 v208, v171
	v_mov_b32_e32 v5, v2
	buffer_store_dword v4, off, s[20:23], 0 offset:160 ; 4-byte Folded Spill
	buffer_store_dword v5, off, s[20:23], 0 offset:164 ; 4-byte Folded Spill
	s_load_dwordx4 s[4:7], s[16:17], 0x0
	s_waitcnt lgkmcnt(0)
	v_mad_u64_u32 v[2:3], null, s6, v1, 0
	s_mul_i32 s2, s5, 0xca8
	s_mul_hi_u32 s3, s4, 0xca8
	v_add_co_u32 v163, s6, 0x87, v42
	s_add_i32 s2, s3, s2
	s_mul_i32 s3, s4, 0xca8
	v_mov_b32_e32 v0, v3
	v_add_co_ci_u32_e64 v122, null, 0, 0, s6
	v_mad_u64_u32 v[0:1], null, s7, v1, v[0:1]
	v_mov_b32_e32 v3, v0
	v_mad_u64_u32 v[0:1], null, s4, v42, 0
	v_mad_u64_u32 v[4:5], null, s5, v42, v[1:2]
	v_lshlrev_b64 v[2:3], 3, v[2:3]
	s_mulk_i32 s5, 0x9250
	s_sub_i32 s5, s5, s4
	v_add_co_u32 v2, vcc_lo, s14, v2
	v_mov_b32_e32 v1, v4
	global_load_dwordx2 v[4:5], v80, s[8:9]
	v_add_co_ci_u32_e32 v3, vcc_lo, s15, v3, vcc_lo
	v_lshlrev_b64 v[0:1], 3, v[0:1]
	v_add_co_u32 v0, vcc_lo, v2, v0
	v_add_co_ci_u32_e32 v1, vcc_lo, v3, v1, vcc_lo
	global_load_dwordx2 v[2:3], v[0:1], off
	s_waitcnt vmcnt(1)
	buffer_store_dword v4, off, s[20:23], 0 offset:224 ; 4-byte Folded Spill
	buffer_store_dword v5, off, s[20:23], 0 offset:228 ; 4-byte Folded Spill
	s_waitcnt vmcnt(0)
	v_mul_f32_e32 v16, v3, v5
	v_fmac_f32_e32 v16, v2, v4
	v_mul_f32_e32 v2, v2, v5
	v_fma_f32 v17, v3, v4, -v2
	v_add_co_u32 v2, vcc_lo, v0, s3
	v_add_co_ci_u32_e32 v3, vcc_lo, s2, v1, vcc_lo
	v_add_co_u32 v0, vcc_lo, 0x800, v242
	v_add_co_ci_u32_e32 v1, vcc_lo, 0, v243, vcc_lo
	global_load_dwordx2 v[4:5], v[2:3], off
	v_add_co_u32 v2, vcc_lo, v2, s3
	global_load_dwordx2 v[7:8], v[0:1], off offset:1192
	v_add_co_ci_u32_e32 v3, vcc_lo, s2, v3, vcc_lo
	v_add_co_u32 v14, vcc_lo, 0x1800, v242
	v_add_co_ci_u32_e32 v15, vcc_lo, 0, v243, vcc_lo
	s_waitcnt vmcnt(0)
	buffer_store_dword v7, off, s[20:23], 0 offset:216 ; 4-byte Folded Spill
	buffer_store_dword v8, off, s[20:23], 0 offset:220 ; 4-byte Folded Spill
	v_mul_f32_e32 v6, v5, v8
	v_fmac_f32_e32 v6, v4, v7
	v_mul_f32_e32 v4, v4, v8
	v_fma_f32 v7, v5, v7, -v4
	global_load_dwordx2 v[4:5], v[2:3], off
	ds_write_b64 v80, v[6:7] offset:3240
	global_load_dwordx2 v[7:8], v[14:15], off offset:336
	s_waitcnt vmcnt(0)
	buffer_store_dword v7, off, s[20:23], 0 offset:208 ; 4-byte Folded Spill
	buffer_store_dword v8, off, s[20:23], 0 offset:212 ; 4-byte Folded Spill
	v_mul_f32_e32 v6, v5, v8
	v_fmac_f32_e32 v6, v4, v7
	v_mul_f32_e32 v4, v4, v8
	v_fma_f32 v7, v5, v7, -v4
	v_add_co_u32 v4, vcc_lo, v2, s3
	v_add_co_ci_u32_e32 v5, vcc_lo, s2, v3, vcc_lo
	v_add_co_u32 v2, vcc_lo, 0x2000, v242
	v_add_co_ci_u32_e32 v3, vcc_lo, 0, v243, vcc_lo
	ds_write_b64 v80, v[6:7] offset:6480
	global_load_dwordx2 v[6:7], v[4:5], off
	v_add_co_u32 v4, vcc_lo, v4, s3
	global_load_dwordx2 v[9:10], v[2:3], off offset:1528
	v_add_co_ci_u32_e32 v5, vcc_lo, s2, v5, vcc_lo
	v_add_co_u32 v12, vcc_lo, 0x3000, v242
	v_add_co_ci_u32_e32 v13, vcc_lo, 0, v243, vcc_lo
	s_waitcnt vmcnt(0)
	buffer_store_dword v9, off, s[20:23], 0 offset:240 ; 4-byte Folded Spill
	buffer_store_dword v10, off, s[20:23], 0 offset:244 ; 4-byte Folded Spill
	v_mul_f32_e32 v8, v7, v10
	v_fmac_f32_e32 v8, v6, v9
	v_mul_f32_e32 v6, v6, v10
	v_fma_f32 v9, v7, v9, -v6
	global_load_dwordx2 v[6:7], v[4:5], off
	ds_write_b64 v80, v[8:9] offset:9720
	global_load_dwordx2 v[9:10], v[12:13], off offset:672
	s_waitcnt vmcnt(0)
	buffer_store_dword v9, off, s[20:23], 0 offset:232 ; 4-byte Folded Spill
	buffer_store_dword v10, off, s[20:23], 0 offset:236 ; 4-byte Folded Spill
	v_mul_f32_e32 v8, v7, v10
	v_fmac_f32_e32 v8, v6, v9
	v_mul_f32_e32 v6, v6, v10
	v_fma_f32 v9, v7, v9, -v6
	v_add_co_u32 v6, vcc_lo, v4, s3
	v_add_co_ci_u32_e32 v7, vcc_lo, s2, v5, vcc_lo
	v_add_co_u32 v4, vcc_lo, 0x3800, v242
	v_add_co_ci_u32_e32 v5, vcc_lo, 0, v243, vcc_lo
	ds_write_b64 v80, v[8:9] offset:12960
	global_load_dwordx2 v[8:9], v[6:7], off
	v_add_co_u32 v6, vcc_lo, v6, s3
	global_load_dwordx2 v[18:19], v[4:5], off offset:1864
	v_add_co_ci_u32_e32 v7, vcc_lo, s2, v7, vcc_lo
	s_waitcnt vmcnt(0)
	buffer_store_dword v18, off, s[20:23], 0 offset:200 ; 4-byte Folded Spill
	buffer_store_dword v19, off, s[20:23], 0 offset:204 ; 4-byte Folded Spill
	v_mul_f32_e32 v10, v9, v19
	v_fmac_f32_e32 v10, v8, v18
	v_mul_f32_e32 v8, v8, v19
	v_fma_f32 v11, v9, v18, -v8
	global_load_dwordx2 v[8:9], v[6:7], off
	ds_write_b64 v80, v[10:11] offset:16200
	v_add_co_u32 v10, vcc_lo, 0x4800, v242
	v_add_co_ci_u32_e32 v11, vcc_lo, 0, v243, vcc_lo
	v_add_co_u32 v6, vcc_lo, v6, s3
	v_add_co_ci_u32_e32 v7, vcc_lo, s2, v7, vcc_lo
	global_load_dwordx2 v[18:19], v[10:11], off offset:1008
	s_waitcnt vmcnt(0)
	buffer_store_dword v18, off, s[20:23], 0 offset:192 ; 4-byte Folded Spill
	buffer_store_dword v19, off, s[20:23], 0 offset:196 ; 4-byte Folded Spill
	v_mul_f32_e32 v10, v9, v19
	v_fmac_f32_e32 v10, v8, v18
	v_mul_f32_e32 v8, v8, v19
	v_fma_f32 v11, v9, v18, -v8
	global_load_dwordx2 v[8:9], v[6:7], off
	ds_write_b64 v80, v[10:11] offset:19440
	v_add_co_u32 v10, vcc_lo, 0x5800, v242
	v_add_co_ci_u32_e32 v11, vcc_lo, 0, v243, vcc_lo
	global_load_dwordx2 v[19:20], v[10:11], off offset:152
	s_waitcnt vmcnt(0)
	buffer_store_dword v19, off, s[20:23], 0 offset:184 ; 4-byte Folded Spill
	buffer_store_dword v20, off, s[20:23], 0 offset:188 ; 4-byte Folded Spill
	v_mul_f32_e32 v18, v9, v20
	v_fmac_f32_e32 v18, v8, v19
	v_mul_f32_e32 v8, v8, v20
	v_fma_f32 v19, v9, v19, -v8
	v_add_co_u32 v8, vcc_lo, v6, s3
	v_add_co_ci_u32_e32 v9, vcc_lo, s2, v7, vcc_lo
	v_add_co_u32 v6, vcc_lo, 0x6000, v242
	v_add_co_ci_u32_e32 v7, vcc_lo, 0, v243, vcc_lo
	ds_write_b64 v80, v[18:19] offset:22680
	global_load_dwordx2 v[18:19], v[8:9], off
	global_load_dwordx2 v[21:22], v[6:7], off offset:1344
	s_waitcnt vmcnt(0)
	buffer_store_dword v21, off, s[20:23], 0 offset:176 ; 4-byte Folded Spill
	buffer_store_dword v22, off, s[20:23], 0 offset:180 ; 4-byte Folded Spill
	v_mul_f32_e32 v20, v19, v22
	v_fmac_f32_e32 v20, v18, v21
	v_mul_f32_e32 v18, v18, v22
	v_fma_f32 v21, v19, v21, -v18
	v_add_co_u32 v18, vcc_lo, v8, s3
	v_add_co_ci_u32_e32 v19, vcc_lo, s2, v9, vcc_lo
	v_add_co_u32 v8, vcc_lo, 0x7000, v242
	v_add_co_ci_u32_e32 v9, vcc_lo, 0, v243, vcc_lo
	ds_write_b64 v80, v[20:21] offset:25920
	global_load_dwordx2 v[20:21], v[18:19], off
	v_mad_u64_u32 v[18:19], null, 0xffff9250, s4, v[18:19]
	global_load_dwordx2 v[23:24], v[8:9], off offset:488
	s_waitcnt vmcnt(0)
	buffer_store_dword v23, off, s[20:23], 0 offset:168 ; 4-byte Folded Spill
	buffer_store_dword v24, off, s[20:23], 0 offset:172 ; 4-byte Folded Spill
	v_add_nc_u32_e32 v19, s5, v19
	v_mul_f32_e32 v22, v21, v24
	v_fmac_f32_e32 v22, v20, v23
	v_mul_f32_e32 v20, v20, v24
	v_fma_f32 v23, v21, v23, -v20
	ds_write_b64 v80, v[22:23] offset:29160
	global_load_dwordx2 v[20:21], v[18:19], off
	global_load_dwordx2 v[23:24], v80, s[8:9] offset:1080
	s_waitcnt vmcnt(0)
	buffer_store_dword v23, off, s[20:23], 0 offset:128 ; 4-byte Folded Spill
	buffer_store_dword v24, off, s[20:23], 0 offset:132 ; 4-byte Folded Spill
	v_mul_f32_e32 v22, v21, v24
	v_fmac_f32_e32 v22, v20, v23
	v_mul_f32_e32 v20, v20, v24
	v_fma_f32 v23, v21, v23, -v20
	ds_write2_b64 v80, v[16:17], v[22:23] offset1:135
	v_add_co_u32 v16, vcc_lo, v18, s3
	v_add_co_ci_u32_e32 v17, vcc_lo, s2, v19, vcc_lo
	v_add_co_u32 v20, vcc_lo, 0x1000, v242
	v_add_co_ci_u32_e32 v21, vcc_lo, 0, v243, vcc_lo
	global_load_dwordx2 v[18:19], v[16:17], off
	v_add_co_u32 v16, vcc_lo, v16, s3
	global_load_dwordx2 v[23:24], v[20:21], off offset:224
	v_add_co_ci_u32_e32 v17, vcc_lo, s2, v17, vcc_lo
	s_waitcnt vmcnt(0)
	buffer_store_dword v23, off, s[20:23], 0 offset:152 ; 4-byte Folded Spill
	buffer_store_dword v24, off, s[20:23], 0 offset:156 ; 4-byte Folded Spill
	v_mul_f32_e32 v22, v19, v24
	v_fmac_f32_e32 v22, v18, v23
	v_mul_f32_e32 v18, v18, v24
	v_fma_f32 v23, v19, v23, -v18
	global_load_dwordx2 v[18:19], v[16:17], off
	global_load_dwordx2 v[24:25], v[14:15], off offset:1416
	v_add_co_u32 v16, vcc_lo, v16, s3
	v_add_co_ci_u32_e32 v17, vcc_lo, s2, v17, vcc_lo
	s_waitcnt vmcnt(0)
	buffer_store_dword v24, off, s[20:23], 0 offset:136 ; 4-byte Folded Spill
	buffer_store_dword v25, off, s[20:23], 0 offset:140 ; 4-byte Folded Spill
	v_mul_f32_e32 v14, v19, v25
	v_mul_f32_e32 v15, v18, v25
	v_fmac_f32_e32 v14, v18, v24
	v_fma_f32 v15, v19, v24, -v15
	v_add_co_u32 v24, vcc_lo, 0x2800, v242
	v_add_co_ci_u32_e32 v25, vcc_lo, 0, v243, vcc_lo
	global_load_dwordx2 v[18:19], v[16:17], off
	v_add_co_u32 v16, vcc_lo, v16, s3
	global_load_dwordx2 v[27:28], v[24:25], off offset:560
	v_add_co_ci_u32_e32 v17, vcc_lo, s2, v17, vcc_lo
	s_waitcnt vmcnt(0)
	buffer_store_dword v27, off, s[20:23], 0 offset:144 ; 4-byte Folded Spill
	buffer_store_dword v28, off, s[20:23], 0 offset:148 ; 4-byte Folded Spill
	v_mul_f32_e32 v26, v19, v28
	v_fmac_f32_e32 v26, v18, v27
	v_mul_f32_e32 v18, v18, v28
	v_fma_f32 v27, v19, v27, -v18
	global_load_dwordx2 v[18:19], v[16:17], off
	global_load_dwordx2 v[28:29], v[12:13], off offset:1752
	v_add_co_u32 v16, vcc_lo, v16, s3
	v_add_co_ci_u32_e32 v17, vcc_lo, s2, v17, vcc_lo
	s_waitcnt vmcnt(0)
	buffer_store_dword v28, off, s[20:23], 0 offset:112 ; 4-byte Folded Spill
	buffer_store_dword v29, off, s[20:23], 0 offset:116 ; 4-byte Folded Spill
	v_mul_f32_e32 v12, v19, v29
	v_mul_f32_e32 v13, v18, v29
	v_fmac_f32_e32 v12, v18, v28
	v_fma_f32 v13, v19, v28, -v13
	v_add_co_u32 v28, vcc_lo, 0x4000, v242
	v_add_co_ci_u32_e32 v29, vcc_lo, 0, v243, vcc_lo
	global_load_dwordx2 v[18:19], v[16:17], off
	v_add_co_u32 v16, vcc_lo, v16, s3
	global_load_dwordx2 v[31:32], v[28:29], off offset:896
	v_add_co_ci_u32_e32 v17, vcc_lo, s2, v17, vcc_lo
	s_waitcnt vmcnt(0)
	buffer_store_dword v31, off, s[20:23], 0 offset:120 ; 4-byte Folded Spill
	buffer_store_dword v32, off, s[20:23], 0 offset:124 ; 4-byte Folded Spill
	v_mul_f32_e32 v30, v19, v32
	v_fmac_f32_e32 v30, v18, v31
	v_mul_f32_e32 v18, v18, v32
	v_add_co_u32 v32, vcc_lo, 0x5000, v242
	v_add_co_ci_u32_e32 v33, vcc_lo, 0, v243, vcc_lo
	v_fma_f32 v31, v19, v31, -v18
	global_load_dwordx2 v[18:19], v[16:17], off
	v_add_co_u32 v16, vcc_lo, v16, s3
	global_load_dwordx2 v[35:36], v[32:33], off offset:40
	v_add_co_ci_u32_e32 v17, vcc_lo, s2, v17, vcc_lo
	s_waitcnt vmcnt(0)
	buffer_store_dword v35, off, s[20:23], 0 offset:96 ; 4-byte Folded Spill
	buffer_store_dword v36, off, s[20:23], 0 offset:100 ; 4-byte Folded Spill
	v_mul_f32_e32 v34, v19, v36
	v_fmac_f32_e32 v34, v18, v35
	v_mul_f32_e32 v18, v18, v36
	v_fma_f32 v35, v19, v35, -v18
	global_load_dwordx2 v[18:19], v[16:17], off
	global_load_dwordx2 v[36:37], v[10:11], off offset:1232
	v_add_co_u32 v16, vcc_lo, v16, s3
	v_add_co_ci_u32_e32 v17, vcc_lo, s2, v17, vcc_lo
	s_waitcnt vmcnt(0)
	buffer_store_dword v36, off, s[20:23], 0 offset:88 ; 4-byte Folded Spill
	buffer_store_dword v37, off, s[20:23], 0 offset:92 ; 4-byte Folded Spill
	v_mul_f32_e32 v10, v19, v37
	v_mul_f32_e32 v11, v18, v37
	v_fmac_f32_e32 v10, v18, v36
	v_fma_f32 v11, v19, v36, -v11
	v_add_co_u32 v36, vcc_lo, 0x6800, v242
	v_add_co_ci_u32_e32 v37, vcc_lo, 0, v243, vcc_lo
	global_load_dwordx2 v[18:19], v[16:17], off
	v_add_co_u32 v16, vcc_lo, v16, s3
	global_load_dwordx2 v[39:40], v[36:37], off offset:376
	v_add_co_ci_u32_e32 v17, vcc_lo, s2, v17, vcc_lo
	s_waitcnt vmcnt(0)
	buffer_store_dword v39, off, s[20:23], 0 offset:104 ; 4-byte Folded Spill
	buffer_store_dword v40, off, s[20:23], 0 offset:108 ; 4-byte Folded Spill
	v_mul_f32_e32 v38, v19, v40
	v_fmac_f32_e32 v38, v18, v39
	v_mul_f32_e32 v18, v18, v40
	v_fma_f32 v39, v19, v39, -v18
	global_load_dwordx2 v[18:19], v[16:17], off
	global_load_dwordx2 v[40:41], v[8:9], off offset:1568
	v_mad_u64_u32 v[16:17], null, 0xffff9250, s4, v[16:17]
	s_mul_i32 s4, s1, 0xca8
	s_waitcnt vmcnt(0)
	buffer_store_dword v40, off, s[20:23], 0 offset:80 ; 4-byte Folded Spill
	buffer_store_dword v41, off, s[20:23], 0 offset:84 ; 4-byte Folded Spill
	v_add_nc_u32_e32 v17, s5, v17
	s_mul_hi_u32 s5, s0, 0xca8
	s_add_i32 s4, s5, s4
	s_mul_i32 s5, s0, 0xca8
	v_mul_f32_e32 v8, v19, v41
	v_mul_f32_e32 v9, v18, v41
	v_fmac_f32_e32 v8, v18, v40
	v_fma_f32 v9, v19, v40, -v9
	global_load_dwordx2 v[18:19], v[16:17], off
	global_load_dwordx2 v[40:41], v[0:1], off offset:112
	s_waitcnt vmcnt(0)
	buffer_store_dword v40, off, s[20:23], 0 offset:72 ; 4-byte Folded Spill
	buffer_store_dword v41, off, s[20:23], 0 offset:76 ; 4-byte Folded Spill
	v_mul_f32_e32 v0, v19, v41
	v_mul_f32_e32 v1, v18, v41
	v_fmac_f32_e32 v0, v18, v40
	v_fma_f32 v1, v19, v40, -v1
	ds_write_b64 v80, v[0:1] offset:2160
	v_add_co_u32 v0, vcc_lo, v16, s3
	v_add_co_ci_u32_e32 v1, vcc_lo, s2, v17, vcc_lo
	global_load_dwordx2 v[16:17], v[0:1], off
	global_load_dwordx2 v[19:20], v[20:21], off offset:1304
	v_add_co_u32 v0, vcc_lo, v0, s3
	v_add_co_ci_u32_e32 v1, vcc_lo, s2, v1, vcc_lo
	s_waitcnt vmcnt(0)
	buffer_store_dword v19, off, s[20:23], 0 offset:64 ; 4-byte Folded Spill
	buffer_store_dword v20, off, s[20:23], 0 offset:68 ; 4-byte Folded Spill
	v_mul_f32_e32 v18, v17, v20
	v_fmac_f32_e32 v18, v16, v19
	v_mul_f32_e32 v16, v16, v20
	v_fma_f32 v19, v17, v19, -v16
	v_add_nc_u32_e32 v16, 0x1000, v80
	ds_write2_b64 v16, v[22:23], v[18:19] offset0:28 offset1:163
	v_mov_b32_e32 v82, v16
	global_load_dwordx2 v[16:17], v[0:1], off
	global_load_dwordx2 v[18:19], v[2:3], off offset:448
	v_add_co_u32 v0, vcc_lo, v0, s3
	v_add_co_ci_u32_e32 v1, vcc_lo, s2, v1, vcc_lo
	s_waitcnt vmcnt(0)
	buffer_store_dword v18, off, s[20:23], 0 offset:48 ; 4-byte Folded Spill
	buffer_store_dword v19, off, s[20:23], 0 offset:52 ; 4-byte Folded Spill
	v_mul_f32_e32 v2, v17, v19
	v_mul_f32_e32 v3, v16, v19
	v_fmac_f32_e32 v2, v16, v18
	v_fma_f32 v3, v17, v18, -v3
	v_add_nc_u32_e32 v16, 0x1c00, v80
	ds_write2_b64 v16, v[14:15], v[2:3] offset0:49 offset1:184
	global_load_dwordx2 v[2:3], v[0:1], off
	global_load_dwordx2 v[15:16], v[24:25], off offset:1640
	v_add_co_u32 v0, vcc_lo, v0, s3
	v_add_co_ci_u32_e32 v1, vcc_lo, s2, v1, vcc_lo
	s_waitcnt vmcnt(0)
	buffer_store_dword v15, off, s[20:23], 0 offset:40 ; 4-byte Folded Spill
	buffer_store_dword v16, off, s[20:23], 0 offset:44 ; 4-byte Folded Spill
	v_mul_f32_e32 v14, v3, v16
	v_fmac_f32_e32 v14, v2, v15
	v_mul_f32_e32 v2, v2, v16
	v_fma_f32 v15, v3, v15, -v2
	v_add_nc_u32_e32 v2, 0x2800, v80
	ds_write2_b64 v2, v[26:27], v[14:15] offset0:70 offset1:205
	v_mov_b32_e32 v16, v2
	global_load_dwordx2 v[2:3], v[0:1], off
	global_load_dwordx2 v[14:15], v[4:5], off offset:784
	v_add_co_u32 v0, vcc_lo, v0, s3
	v_add_co_ci_u32_e32 v1, vcc_lo, s2, v1, vcc_lo
	v_mov_b32_e32 v86, v16
	s_waitcnt vmcnt(0)
	buffer_store_dword v14, off, s[20:23], 0 offset:32 ; 4-byte Folded Spill
	buffer_store_dword v15, off, s[20:23], 0 offset:36 ; 4-byte Folded Spill
	v_mov_b32_e32 v123, v86
	v_mul_f32_e32 v4, v3, v15
	v_fmac_f32_e32 v4, v2, v14
	v_mul_f32_e32 v2, v2, v15
	v_fma_f32 v5, v3, v14, -v2
	v_add_nc_u32_e32 v2, 0x3400, v80
	ds_write2_b64 v2, v[12:13], v[4:5] offset0:91 offset1:226
	global_load_dwordx2 v[2:3], v[0:1], off
	global_load_dwordx2 v[12:13], v[28:29], off offset:1976
	v_add_co_u32 v0, vcc_lo, v0, s3
	v_add_co_ci_u32_e32 v1, vcc_lo, s2, v1, vcc_lo
	s_waitcnt vmcnt(0)
	buffer_store_dword v12, off, s[20:23], 0 offset:24 ; 4-byte Folded Spill
	buffer_store_dword v13, off, s[20:23], 0 offset:28 ; 4-byte Folded Spill
	v_mul_f32_e32 v4, v3, v13
	v_fmac_f32_e32 v4, v2, v12
	v_mul_f32_e32 v2, v2, v13
	v_fma_f32 v5, v3, v12, -v2
	v_add_nc_u32_e32 v2, 0x4000, v80
	ds_write2_b64 v2, v[30:31], v[4:5] offset0:112 offset1:247
	v_mov_b32_e32 v14, v2
	global_load_dwordx2 v[2:3], v[0:1], off
	global_load_dwordx2 v[12:13], v[32:33], off offset:1120
	v_add_co_u32 v0, vcc_lo, v0, s3
	v_add_co_ci_u32_e32 v1, vcc_lo, s2, v1, vcc_lo
	v_mov_b32_e32 v85, v14
	s_waitcnt vmcnt(0)
	buffer_store_dword v12, off, s[20:23], 0 offset:16 ; 4-byte Folded Spill
	buffer_store_dword v13, off, s[20:23], 0 offset:20 ; 4-byte Folded Spill
	v_mov_b32_e32 v121, v85
	v_mul_f32_e32 v4, v3, v13
	v_fmac_f32_e32 v4, v2, v12
	v_mul_f32_e32 v2, v2, v13
	v_fma_f32 v5, v3, v12, -v2
	v_add_nc_u32_e32 v2, 0x5000, v80
	ds_write2_b64 v2, v[34:35], v[4:5] offset0:5 offset1:140
	global_load_dwordx2 v[2:3], v[0:1], off
	global_load_dwordx2 v[5:6], v[6:7], off offset:264
	v_add_co_u32 v0, vcc_lo, v0, s3
	v_add_co_ci_u32_e32 v1, vcc_lo, s2, v1, vcc_lo
	s_waitcnt vmcnt(0)
	buffer_store_dword v5, off, s[20:23], 0 offset:8 ; 4-byte Folded Spill
	buffer_store_dword v6, off, s[20:23], 0 offset:12 ; 4-byte Folded Spill
	v_mul_f32_e32 v4, v3, v6
	v_fmac_f32_e32 v4, v2, v5
	v_mul_f32_e32 v2, v2, v6
	v_fma_f32 v5, v3, v5, -v2
	v_add_nc_u32_e32 v2, 0x5c00, v80
	ds_write2_b64 v2, v[10:11], v[4:5] offset0:26 offset1:161
	v_mov_b32_e32 v12, v2
	global_load_dwordx2 v[2:3], v[0:1], off
	global_load_dwordx2 v[5:6], v[36:37], off offset:1456
	v_add_co_u32 v0, vcc_lo, v0, s3
	v_add_co_ci_u32_e32 v1, vcc_lo, s2, v1, vcc_lo
	v_mov_b32_e32 v84, v12
	s_waitcnt vmcnt(0)
	buffer_store_dword v5, off, s[20:23], 0 ; 4-byte Folded Spill
	buffer_store_dword v6, off, s[20:23], 0 offset:4 ; 4-byte Folded Spill
	global_load_dwordx2 v[0:1], v[0:1], off
	v_mov_b32_e32 v81, v84
	v_mul_f32_e32 v4, v3, v6
	v_fmac_f32_e32 v4, v2, v5
	v_mul_f32_e32 v2, v2, v6
	v_fma_f32 v5, v3, v5, -v2
	v_add_nc_u32_e32 v2, 0x6800, v80
	ds_write2_b64 v2, v[38:39], v[4:5] offset0:47 offset1:182
	v_add_co_u32 v2, vcc_lo, 0x7800, v242
	v_add_co_ci_u32_e32 v3, vcc_lo, 0, v243, vcc_lo
	buffer_store_dword v2, off, s[20:23], 0 offset:564 ; 4-byte Folded Spill
	buffer_store_dword v3, off, s[20:23], 0 offset:568 ; 4-byte Folded Spill
	v_cmp_gt_u16_e32 vcc_lo, 15, v203
	global_load_dwordx2 v[3:4], v[2:3], off offset:600
	s_waitcnt vmcnt(0)
	buffer_store_dword v3, off, s[20:23], 0 offset:56 ; 4-byte Folded Spill
	buffer_store_dword v4, off, s[20:23], 0 offset:60 ; 4-byte Folded Spill
	v_mul_f32_e32 v2, v1, v4
	v_fmac_f32_e32 v2, v0, v3
	v_mul_f32_e32 v0, v0, v4
	v_add_nc_u32_e32 v4, 0x3800, v80
	v_fma_f32 v3, v1, v3, -v0
	v_add_nc_u32_e32 v0, 0x7400, v80
	v_mov_b32_e32 v248, v4
	ds_write2_b64 v0, v[8:9], v[2:3] offset0:68 offset1:203
	s_waitcnt lgkmcnt(0)
	s_waitcnt_vscnt null, 0x0
	s_barrier
	buffer_gl0_inv
	ds_read2_b64 v[72:75], v246 offset0:84 offset1:219
	ds_read2_b64 v[52:55], v4 offset0:98 offset1:233
	;; [unrolled: 1-line block ×3, first 2 shown]
	v_add_nc_u32_e32 v4, 0x6400, v80
	ds_read2_b64 v[60:63], v80 offset1:135
	ds_read2_b64 v[64:67], v245 offset0:42 offset1:177
	v_mov_b32_e32 v17, v0
	ds_read2_b64 v[0:3], v244 offset0:14 offset1:149
	ds_read2_b64 v[76:79], v4 offset0:40 offset1:175
	v_mov_b32_e32 v89, v4
	v_add_nc_u32_e32 v4, 0x6c00, v80
	ds_read2_b64 v[48:51], v83 offset0:56 offset1:191
	ds_read2_b64 v[44:47], v225 offset0:12 offset1:147
	v_mov_b32_e32 v253, v17
	v_mov_b32_e32 v124, v89
	ds_read2_b64 v[56:59], v4 offset0:54 offset1:189
	v_mov_b32_e32 v254, v4
	ds_read2_b64 v[4:7], v82 offset0:28 offset1:163
	ds_read2_b64 v[28:31], v16 offset0:70 offset1:205
	;; [unrolled: 1-line block ×5, first 2 shown]
	s_waitcnt lgkmcnt(0)
	v_add_f32_e32 v17, v72, v68
	v_sub_f32_e32 v20, v73, v69
	s_barrier
	v_sub_f32_e32 v21, v64, v72
	v_add_f32_e32 v16, v60, v64
	v_fma_f32 v17, -0.5, v17, v60
	v_sub_f32_e32 v18, v65, v77
	v_sub_f32_e32 v22, v76, v68
	buffer_gl0_inv
	v_add_f32_e32 v16, v16, v72
	v_sub_f32_e32 v24, v55, v47
	v_fmamk_f32 v19, v18, 0x3f737871, v17
	v_fmac_f32_e32 v17, 0xbf737871, v18
	v_add_f32_e32 v21, v21, v22
	v_sub_f32_e32 v22, v68, v76
	v_add_f32_e32 v16, v16, v68
	v_fmac_f32_e32 v19, 0x3f167918, v20
	v_fmac_f32_e32 v17, 0xbf167918, v20
	v_sub_f32_e32 v26, v50, v54
	v_sub_f32_e32 v36, v58, v46
	;; [unrolled: 1-line block ×3, first 2 shown]
	v_fmac_f32_e32 v19, 0x3e9e377a, v21
	v_fmac_f32_e32 v17, 0x3e9e377a, v21
	v_add_f32_e32 v21, v64, v76
	v_add_f32_e32 v26, v26, v36
	v_sub_f32_e32 v36, v54, v50
	v_sub_f32_e32 v38, v51, v55
	;; [unrolled: 1-line block ×3, first 2 shown]
	v_fma_f32 v23, -0.5, v21, v60
	v_sub_f32_e32 v21, v72, v64
	v_add_f32_e32 v36, v36, v37
	v_sub_f32_e32 v40, v47, v59
	v_add_f32_e32 v38, v38, v39
	v_fmamk_f32 v25, v20, 0xbf737871, v23
	v_fmac_f32_e32 v23, 0x3f737871, v20
	v_add_f32_e32 v21, v21, v22
	v_sub_f32_e32 v20, v72, v68
	v_sub_f32_e32 v22, v77, v69
	v_fmac_f32_e32 v25, 0x3f167918, v18
	v_fmac_f32_e32 v23, 0xbf167918, v18
	v_add_f32_e32 v18, v61, v65
	v_add_f32_e32 v16, v16, v76
	v_fmac_f32_e32 v25, 0x3e9e377a, v21
	v_fmac_f32_e32 v23, 0x3e9e377a, v21
	v_add_f32_e32 v18, v18, v73
	v_sub_f32_e32 v21, v65, v73
	v_add_f32_e32 v18, v18, v69
	v_add_f32_e32 v21, v21, v22
	v_sub_f32_e32 v22, v69, v77
	v_add_f32_e32 v27, v18, v77
	v_add_f32_e32 v18, v73, v69
	v_fma_f32 v60, -0.5, v18, v61
	v_sub_f32_e32 v18, v64, v76
	v_fmamk_f32 v64, v18, 0xbf737871, v60
	v_fmac_f32_e32 v60, 0x3f737871, v18
	v_fmac_f32_e32 v64, 0xbf167918, v20
	;; [unrolled: 1-line block ×5, first 2 shown]
	v_add_f32_e32 v21, v65, v77
	v_fma_f32 v61, -0.5, v21, v61
	v_sub_f32_e32 v21, v73, v65
	v_fmamk_f32 v68, v20, 0x3f737871, v61
	v_fmac_f32_e32 v61, 0xbf737871, v20
	v_add_f32_e32 v21, v21, v22
	v_add_f32_e32 v20, v54, v46
	v_fmac_f32_e32 v68, 0xbf167918, v18
	v_fmac_f32_e32 v61, 0x3f167918, v18
	v_add_f32_e32 v18, v2, v50
	v_fmac_f32_e32 v68, 0x3e9e377a, v21
	v_fmac_f32_e32 v61, 0x3e9e377a, v21
	v_fma_f32 v21, -0.5, v20, v2
	v_sub_f32_e32 v20, v51, v59
	v_add_f32_e32 v18, v18, v54
	v_fmamk_f32 v22, v20, 0x3f737871, v21
	v_fmac_f32_e32 v21, 0xbf737871, v20
	v_add_f32_e32 v18, v18, v46
	v_fmac_f32_e32 v22, 0x3f167918, v24
	v_fmac_f32_e32 v21, 0xbf167918, v24
	v_add_f32_e32 v18, v18, v58
	v_fmac_f32_e32 v22, 0x3e9e377a, v26
	v_fmac_f32_e32 v21, 0x3e9e377a, v26
	v_add_f32_e32 v26, v50, v58
	v_fma_f32 v2, -0.5, v26, v2
	v_fmamk_f32 v26, v24, 0xbf737871, v2
	v_fmac_f32_e32 v2, 0x3f737871, v24
	v_fmac_f32_e32 v26, 0x3f167918, v20
	;; [unrolled: 1-line block ×3, first 2 shown]
	v_add_f32_e32 v20, v3, v51
	v_fmac_f32_e32 v26, 0x3e9e377a, v36
	v_fmac_f32_e32 v2, 0x3e9e377a, v36
	v_add_f32_e32 v20, v20, v55
	v_sub_f32_e32 v36, v54, v46
	v_mul_f32_e32 v46, 0x3f4f1bbd, v22
	v_mul_f32_e32 v54, 0xbf167918, v22
	v_sub_f32_e32 v22, v16, v18
	v_add_f32_e32 v20, v20, v47
	v_add_f32_e32 v65, v20, v59
	;; [unrolled: 1-line block ×4, first 2 shown]
	v_fma_f32 v24, -0.5, v20, v3
	v_sub_f32_e32 v20, v50, v58
	v_mul_f32_e32 v50, 0xbe9e377a, v2
	v_sub_f32_e32 v58, v70, v78
	v_fmamk_f32 v37, v20, 0xbf737871, v24
	v_fmac_f32_e32 v24, 0x3f737871, v20
	v_fmac_f32_e32 v37, 0xbf167918, v36
	;; [unrolled: 1-line block ×5, first 2 shown]
	v_add_f32_e32 v38, v51, v59
	v_fmac_f32_e32 v46, 0x3f167918, v37
	v_fmac_f32_e32 v54, 0x3f4f1bbd, v37
	v_fma_f32 v3, -0.5, v38, v3
	v_sub_f32_e32 v38, v55, v51
	v_mul_f32_e32 v51, 0xbf4f1bbd, v21
	v_add_f32_e32 v42, v19, v46
	v_mul_f32_e32 v55, 0xbf737871, v26
	v_fmamk_f32 v39, v36, 0x3f737871, v3
	v_fmac_f32_e32 v3, 0xbf737871, v36
	v_add_f32_e32 v38, v38, v40
	v_fmac_f32_e32 v51, 0x3f167918, v24
	v_add_f32_e32 v40, v16, v18
	v_fmac_f32_e32 v39, 0xbf167918, v20
	v_fmac_f32_e32 v3, 0x3f167918, v20
	v_add_f32_e32 v43, v64, v54
	v_add_f32_e32 v20, v17, v51
	v_sub_f32_e32 v18, v17, v51
	v_fmac_f32_e32 v39, 0x3e9e377a, v38
	v_fmac_f32_e32 v3, 0x3e9e377a, v38
	v_sub_f32_e32 v51, v66, v74
	v_mul_f32_e32 v47, 0x3f737871, v39
	v_fmac_f32_e32 v50, 0x3f737871, v3
	v_mul_f32_e32 v3, 0xbe9e377a, v3
	v_fmac_f32_e32 v55, 0x3e9e377a, v39
	v_fmac_f32_e32 v47, 0x3e9e377a, v26
	v_add_f32_e32 v38, v23, v50
	v_fmac_f32_e32 v3, 0xbf737871, v2
	v_mul_f32_e32 v2, 0xbf4f1bbd, v24
	v_sub_f32_e32 v24, v19, v46
	v_add_f32_e32 v36, v25, v47
	v_sub_f32_e32 v26, v25, v47
	v_add_f32_e32 v39, v61, v3
	v_fmac_f32_e32 v2, 0xbf167918, v21
	v_sub_f32_e32 v16, v23, v50
	v_sub_f32_e32 v25, v64, v54
	;; [unrolled: 1-line block ×4, first 2 shown]
	v_add_f32_e32 v21, v60, v2
	v_sub_f32_e32 v19, v60, v2
	v_add_f32_e32 v2, v62, v66
	v_sub_f32_e32 v54, v78, v70
	v_add_f32_e32 v37, v68, v55
	v_sub_f32_e32 v23, v27, v65
	v_sub_f32_e32 v27, v68, v55
	v_add_f32_e32 v2, v2, v74
	v_add_f32_e32 v51, v51, v54
	v_sub_f32_e32 v55, v74, v66
	v_sub_f32_e32 v60, v79, v71
	;; [unrolled: 1-line block ×3, first 2 shown]
	v_add_f32_e32 v2, v2, v70
	v_add_f32_e32 v55, v55, v58
	v_sub_f32_e32 v58, v67, v75
	v_add_f32_e32 v46, v2, v78
	v_add_f32_e32 v2, v74, v70
	;; [unrolled: 1-line block ×3, first 2 shown]
	v_sub_f32_e32 v60, v71, v79
	v_fma_f32 v47, -0.5, v2, v62
	v_sub_f32_e32 v2, v67, v79
	v_fmamk_f32 v50, v2, 0x3f737871, v47
	v_fmac_f32_e32 v47, 0xbf737871, v2
	v_fmac_f32_e32 v50, 0x3f167918, v3
	;; [unrolled: 1-line block ×5, first 2 shown]
	v_add_f32_e32 v51, v66, v78
	v_fma_f32 v51, -0.5, v51, v62
	v_sub_f32_e32 v62, v33, v9
	v_fmamk_f32 v54, v3, 0xbf737871, v51
	v_fmac_f32_e32 v51, 0x3f737871, v3
	v_sub_f32_e32 v3, v74, v70
	v_fmac_f32_e32 v54, 0x3f167918, v2
	v_fmac_f32_e32 v51, 0xbf167918, v2
	v_add_f32_e32 v2, v63, v67
	v_fmac_f32_e32 v54, 0x3e9e377a, v55
	v_fmac_f32_e32 v51, 0x3e9e377a, v55
	v_add_f32_e32 v2, v2, v75
	v_add_f32_e32 v2, v2, v71
	v_add_f32_e32 v55, v2, v79
	v_add_f32_e32 v2, v75, v71
	v_fma_f32 v65, -0.5, v2, v63
	v_sub_f32_e32 v2, v66, v78
	v_sub_f32_e32 v66, v12, v8
	v_and_b32_e32 v78, 0xff, v203
	v_fmamk_f32 v59, v2, 0xbf737871, v65
	v_fmac_f32_e32 v65, 0x3f737871, v2
	v_add_f32_e32 v64, v64, v66
	v_sub_f32_e32 v66, v32, v28
	v_fmac_f32_e32 v59, 0xbf167918, v3
	v_fmac_f32_e32 v65, 0x3f167918, v3
	;; [unrolled: 1-line block ×4, first 2 shown]
	v_add_f32_e32 v58, v67, v79
	v_fmac_f32_e32 v63, -0.5, v58
	v_sub_f32_e32 v58, v75, v67
	v_sub_f32_e32 v67, v8, v12
	v_fmamk_f32 v61, v3, 0x3f737871, v63
	v_fmac_f32_e32 v63, 0xbf737871, v3
	v_add_f32_e32 v58, v58, v60
	v_add_f32_e32 v66, v66, v67
	v_fmac_f32_e32 v61, 0xbf167918, v2
	v_fmac_f32_e32 v63, 0x3f167918, v2
	v_add_f32_e32 v2, v4, v28
	v_fmac_f32_e32 v61, 0x3e9e377a, v58
	v_fmac_f32_e32 v63, 0x3e9e377a, v58
	v_add_f32_e32 v2, v2, v32
	v_add_f32_e32 v2, v2, v8
	;; [unrolled: 1-line block ×4, first 2 shown]
	v_sub_f32_e32 v8, v32, v8
	v_sub_f32_e32 v32, v13, v9
	v_add_f32_e32 v70, v46, v58
	v_fma_f32 v3, -0.5, v2, v4
	v_sub_f32_e32 v2, v29, v13
	v_fmamk_f32 v60, v2, 0x3f737871, v3
	v_fmac_f32_e32 v3, 0xbf737871, v2
	v_fmac_f32_e32 v60, 0x3f167918, v62
	;; [unrolled: 1-line block ×5, first 2 shown]
	v_add_f32_e32 v64, v28, v12
	v_fma_f32 v4, -0.5, v64, v4
	v_fmamk_f32 v64, v62, 0xbf737871, v4
	v_fmac_f32_e32 v4, 0x3f737871, v62
	v_fmac_f32_e32 v64, 0x3f167918, v2
	;; [unrolled: 1-line block ×3, first 2 shown]
	v_add_f32_e32 v2, v5, v29
	v_fmac_f32_e32 v64, 0x3e9e377a, v66
	v_fmac_f32_e32 v4, 0x3e9e377a, v66
	v_add_f32_e32 v2, v2, v33
	v_add_f32_e32 v2, v2, v9
	;; [unrolled: 1-line block ×4, first 2 shown]
	v_sub_f32_e32 v9, v9, v13
	v_add_f32_e32 v71, v55, v74
	v_fma_f32 v62, -0.5, v2, v5
	v_sub_f32_e32 v2, v28, v12
	v_sub_f32_e32 v28, v29, v33
	v_fmamk_f32 v12, v2, 0xbf737871, v62
	v_fmac_f32_e32 v62, 0x3f737871, v2
	v_add_f32_e32 v28, v28, v32
	v_mul_f32_e32 v32, 0xbf167918, v60
	v_fmac_f32_e32 v12, 0xbf167918, v8
	v_fmac_f32_e32 v62, 0x3f167918, v8
	;; [unrolled: 1-line block ×4, first 2 shown]
	v_add_f32_e32 v28, v29, v13
	v_sub_f32_e32 v29, v33, v29
	v_mul_f32_e32 v13, 0xbe9e377a, v4
	v_fmac_f32_e32 v32, 0x3f4f1bbd, v12
	v_mul_f32_e32 v33, 0xbf4f1bbd, v62
	v_fma_f32 v5, -0.5, v28, v5
	v_add_f32_e32 v9, v29, v9
	v_mul_f32_e32 v29, 0xbf4f1bbd, v3
	v_add_f32_e32 v73, v59, v32
	v_fmac_f32_e32 v33, 0xbf167918, v3
	v_fmamk_f32 v28, v8, 0x3f737871, v5
	v_fmac_f32_e32 v5, 0xbf737871, v8
	v_mul_f32_e32 v8, 0x3f4f1bbd, v60
	v_sub_f32_e32 v59, v59, v32
	v_add_f32_e32 v3, v65, v33
	v_fmac_f32_e32 v28, 0xbf167918, v2
	v_fmac_f32_e32 v5, 0x3f167918, v2
	;; [unrolled: 1-line block ×3, first 2 shown]
	v_mul_f32_e32 v12, 0xbf737871, v64
	v_sub_f32_e32 v65, v65, v33
	v_fmac_f32_e32 v28, 0x3e9e377a, v9
	v_fmac_f32_e32 v5, 0x3e9e377a, v9
	v_add_f32_e32 v72, v50, v8
	v_fmac_f32_e32 v29, 0x3f167918, v62
	v_mul_f32_e32 v9, 0x3f737871, v28
	v_fmac_f32_e32 v12, 0x3e9e377a, v28
	v_mul_f32_e32 v28, 0xbe9e377a, v5
	v_fmac_f32_e32 v13, 0x3f737871, v5
	v_add_f32_e32 v2, v47, v29
	v_fmac_f32_e32 v9, 0x3e9e377a, v64
	v_add_f32_e32 v67, v61, v12
	v_fmac_f32_e32 v28, 0xbf737871, v4
	v_sub_f32_e32 v4, v46, v58
	v_sub_f32_e32 v58, v50, v8
	v_add_f32_e32 v8, v0, v48
	v_add_f32_e32 v66, v54, v9
	v_add_f32_e32 v68, v51, v13
	v_sub_f32_e32 v60, v54, v9
	v_sub_f32_e32 v62, v51, v13
	v_add_f32_e32 v8, v8, v52
	v_sub_f32_e32 v61, v61, v12
	v_sub_f32_e32 v9, v53, v45
	;; [unrolled: 1-line block ×4, first 2 shown]
	v_add_f32_e32 v8, v8, v44
	v_sub_f32_e32 v64, v47, v29
	v_add_f32_e32 v69, v63, v28
	v_sub_f32_e32 v63, v63, v28
	v_add_f32_e32 v12, v12, v13
	v_add_f32_e32 v32, v8, v56
	;; [unrolled: 1-line block ×3, first 2 shown]
	v_sub_f32_e32 v13, v44, v56
	v_sub_f32_e32 v28, v14, v10
	;; [unrolled: 1-line block ×3, first 2 shown]
	v_fma_f32 v33, -0.5, v8, v0
	v_sub_f32_e32 v8, v49, v57
	v_fmamk_f32 v46, v8, 0x3f737871, v33
	v_fmac_f32_e32 v33, 0xbf737871, v8
	v_fmac_f32_e32 v46, 0x3f167918, v9
	;; [unrolled: 1-line block ×5, first 2 shown]
	v_add_f32_e32 v12, v48, v56
	v_fma_f32 v0, -0.5, v12, v0
	v_sub_f32_e32 v12, v52, v48
	v_fmamk_f32 v47, v9, 0xbf737871, v0
	v_fmac_f32_e32 v0, 0x3f737871, v9
	v_add_f32_e32 v12, v12, v13
	v_sub_f32_e32 v9, v52, v44
	v_sub_f32_e32 v13, v57, v45
	v_fmac_f32_e32 v47, 0x3f167918, v8
	v_fmac_f32_e32 v0, 0xbf167918, v8
	v_add_f32_e32 v8, v1, v49
	v_fmac_f32_e32 v47, 0x3e9e377a, v12
	v_fmac_f32_e32 v0, 0x3e9e377a, v12
	v_add_f32_e32 v8, v8, v53
	v_sub_f32_e32 v12, v49, v53
	v_add_f32_e32 v8, v8, v45
	v_add_f32_e32 v12, v12, v13
	v_sub_f32_e32 v13, v45, v57
	v_add_f32_e32 v50, v8, v57
	v_add_f32_e32 v8, v53, v45
	v_fma_f32 v51, -0.5, v8, v1
	v_sub_f32_e32 v8, v48, v56
	v_fmamk_f32 v48, v8, 0xbf737871, v51
	v_fmac_f32_e32 v51, 0x3f737871, v8
	v_fmac_f32_e32 v48, 0xbf167918, v9
	;; [unrolled: 1-line block ×5, first 2 shown]
	v_add_f32_e32 v12, v49, v57
	v_fmac_f32_e32 v1, -0.5, v12
	v_sub_f32_e32 v12, v53, v49
	v_fmamk_f32 v52, v9, 0x3f737871, v1
	v_fmac_f32_e32 v1, 0xbf737871, v9
	v_add_f32_e32 v12, v12, v13
	v_sub_f32_e32 v9, v35, v11
	v_fmac_f32_e32 v52, 0xbf167918, v8
	v_fmac_f32_e32 v1, 0x3f167918, v8
	v_add_f32_e32 v8, v6, v30
	v_fmac_f32_e32 v52, 0x3e9e377a, v12
	v_fmac_f32_e32 v1, 0x3e9e377a, v12
	v_add_f32_e32 v8, v8, v34
	v_sub_f32_e32 v12, v30, v34
	v_add_f32_e32 v8, v8, v10
	v_add_f32_e32 v12, v12, v28
	v_sub_f32_e32 v28, v10, v14
	v_add_f32_e32 v44, v8, v14
	v_add_f32_e32 v8, v34, v10
	v_fma_f32 v29, -0.5, v8, v6
	v_sub_f32_e32 v8, v31, v15
	v_fmamk_f32 v13, v8, 0x3f737871, v29
	v_fmac_f32_e32 v29, 0xbf737871, v8
	v_fmac_f32_e32 v13, 0x3f167918, v9
	;; [unrolled: 1-line block ×5, first 2 shown]
	v_add_f32_e32 v12, v30, v14
	v_mul_f32_e32 v56, 0xbf167918, v13
	v_mul_f32_e32 v55, 0xbf4f1bbd, v29
	v_fma_f32 v6, -0.5, v12, v6
	v_sub_f32_e32 v12, v34, v30
	v_fmamk_f32 v45, v9, 0xbf737871, v6
	v_fmac_f32_e32 v6, 0x3f737871, v9
	v_add_f32_e32 v12, v12, v28
	v_sub_f32_e32 v9, v34, v10
	v_sub_f32_e32 v10, v31, v35
	v_fmac_f32_e32 v45, 0x3f167918, v8
	v_fmac_f32_e32 v6, 0xbf167918, v8
	v_add_f32_e32 v8, v7, v31
	v_fmac_f32_e32 v45, 0x3e9e377a, v12
	v_fmac_f32_e32 v6, 0x3e9e377a, v12
	v_add_f32_e32 v8, v8, v35
	v_sub_f32_e32 v12, v15, v11
	v_mul_f32_e32 v54, 0xbe9e377a, v6
	v_add_f32_e32 v8, v8, v11
	v_add_f32_e32 v10, v10, v12
	;; [unrolled: 1-line block ×4, first 2 shown]
	v_sub_f32_e32 v11, v11, v15
	v_fma_f32 v53, -0.5, v8, v7
	v_sub_f32_e32 v8, v30, v14
	v_fmamk_f32 v30, v8, 0xbf737871, v53
	v_fmac_f32_e32 v53, 0x3f737871, v8
	v_fmac_f32_e32 v30, 0xbf167918, v9
	;; [unrolled: 1-line block ×5, first 2 shown]
	v_add_f32_e32 v10, v31, v15
	v_fmac_f32_e32 v56, 0x3f4f1bbd, v30
	v_fmac_f32_e32 v55, 0x3f167918, v53
	v_fmac_f32_e32 v7, -0.5, v10
	v_sub_f32_e32 v10, v35, v31
	v_mul_f32_e32 v31, 0x3f4f1bbd, v13
	v_add_f32_e32 v28, v33, v55
	v_fmamk_f32 v34, v9, 0x3f737871, v7
	v_fmac_f32_e32 v7, 0xbf737871, v9
	v_add_f32_e32 v10, v10, v11
	v_fmac_f32_e32 v31, 0x3f167918, v30
	v_sub_f32_e32 v30, v32, v44
	v_fmac_f32_e32 v34, 0xbf167918, v8
	v_fmac_f32_e32 v7, 0x3f167918, v8
	v_add_f32_e32 v8, v32, v44
	v_add_f32_e32 v9, v50, v49
	;; [unrolled: 1-line block ×3, first 2 shown]
	v_fmac_f32_e32 v34, 0x3e9e377a, v10
	v_fmac_f32_e32 v7, 0x3e9e377a, v10
	v_add_f32_e32 v10, v46, v31
	v_sub_f32_e32 v32, v46, v31
	v_sub_f32_e32 v31, v50, v49
	v_mul_f32_e32 v35, 0x3f737871, v34
	v_fmac_f32_e32 v54, 0x3f737871, v7
	v_mul_f32_e32 v7, 0xbe9e377a, v7
	v_sub_f32_e32 v46, v33, v55
	v_sub_f32_e32 v33, v48, v56
	v_fmac_f32_e32 v35, 0x3e9e377a, v45
	v_add_f32_e32 v14, v0, v54
	v_sub_f32_e32 v44, v0, v54
	v_mul_lo_u16 v0, v203, 10
	v_mul_f32_e32 v45, 0xbf737871, v45
	v_fmac_f32_e32 v7, 0xbf737871, v6
	v_mul_f32_e32 v6, 0xbf4f1bbd, v53
	v_add_f32_e32 v12, v47, v35
	v_lshlrev_b32_sdwa v0, v204, v0 dst_sel:DWORD dst_unused:UNUSED_PAD src0_sel:DWORD src1_sel:WORD_0
	v_fmac_f32_e32 v45, 0x3e9e377a, v34
	v_add_f32_e32 v15, v1, v7
	v_fmac_f32_e32 v6, 0xbf167918, v29
	v_sub_f32_e32 v34, v47, v35
	ds_write_b128 v0, v[40:43]
	buffer_store_dword v0, off, s[20:23], 0 offset:524 ; 4-byte Folded Spill
	ds_write_b128 v0, v[36:39] offset:16
	ds_write_b128 v0, v[20:23] offset:32
	ds_write_b128 v0, v[24:27] offset:48
	ds_write_b128 v0, v[16:19] offset:64
	v_mul_lo_u16 v36, 0xcd, v78
	v_mul_u32_u24_e32 v0, 10, v163
	v_add_f32_e32 v13, v52, v45
	v_add_f32_e32 v29, v51, v6
	v_sub_f32_e32 v35, v52, v45
	v_lshrrev_b16 v94, 11, v36
	v_lshlrev_b32_e32 v0, 3, v0
	v_sub_f32_e32 v45, v1, v7
	v_sub_f32_e32 v47, v51, v6
	v_mul_lo_u16 v36, v94, 10
	ds_write_b128 v0, v[70:73]
	buffer_store_dword v0, off, s[20:23], 0 offset:400 ; 4-byte Folded Spill
	ds_write_b128 v0, v[66:69] offset:16
	ds_write_b128 v0, v[2:5] offset:32
	;; [unrolled: 1-line block ×4, first 2 shown]
	v_mul_u32_u24_e32 v0, 10, v164
	v_sub_nc_u16 v36, v203, v36
	v_lshlrev_b32_e32 v0, 3, v0
	v_and_b32_e32 v93, 0xff, v36
	buffer_store_dword v0, off, s[20:23], 0 offset:252 ; 4-byte Folded Spill
	v_lshlrev_b32_e32 v36, 5, v93
	ds_write_b128 v0, v[8:11]
	ds_write_b128 v0, v[12:15] offset:16
	ds_write_b128 v0, v[28:31] offset:32
	;; [unrolled: 1-line block ×4, first 2 shown]
	s_waitcnt lgkmcnt(0)
	s_waitcnt_vscnt null, 0x0
	s_barrier
	buffer_gl0_inv
	ds_read2_b64 v[56:59], v80 offset1:135
	ds_read2_b64 v[60:63], v245 offset0:42 offset1:177
	ds_read2_b64 v[42:45], v246 offset0:84 offset1:219
	;; [unrolled: 1-line block ×11, first 2 shown]
	global_load_dwordx4 v[73:76], v36, s[10:11] offset:16
	ds_read2_b64 v[8:11], v85 offset0:112 offset1:247
	ds_read2_b64 v[4:7], v84 offset0:26 offset1:161
	;; [unrolled: 1-line block ×3, first 2 shown]
	s_waitcnt vmcnt(0)
	buffer_store_dword v73, off, s[20:23], 0 offset:256 ; 4-byte Folded Spill
	buffer_store_dword v74, off, s[20:23], 0 offset:260 ; 4-byte Folded Spill
	;; [unrolled: 1-line block ×4, first 2 shown]
	global_load_dwordx4 v[65:68], v36, s[10:11]
	s_waitcnt vmcnt(0)
	buffer_store_dword v65, off, s[20:23], 0 offset:272 ; 4-byte Folded Spill
	buffer_store_dword v66, off, s[20:23], 0 offset:276 ; 4-byte Folded Spill
	;; [unrolled: 1-line block ×4, first 2 shown]
	s_waitcnt lgkmcnt(13)
	v_mul_f32_e32 v36, v61, v66
	v_mul_f32_e32 v64, v60, v66
	s_waitcnt lgkmcnt(11)
	v_mul_f32_e32 v66, v38, v74
	v_fma_f32 v69, v60, v65, -v36
	v_mul_f32_e32 v36, v43, v68
	v_fmac_f32_e32 v64, v61, v65
	v_mul_f32_e32 v65, v42, v68
	v_fmac_f32_e32 v66, v39, v73
	v_fma_f32 v71, v42, v67, -v36
	v_mul_f32_e32 v36, v39, v74
	v_fmac_f32_e32 v65, v43, v67
	s_waitcnt lgkmcnt(10)
	v_mul_f32_e32 v67, v32, v76
	v_mov_b32_e32 v42, v121
	v_fma_f32 v72, v38, v73, -v36
	v_mul_f32_e32 v36, v33, v76
	v_fmac_f32_e32 v67, v33, v75
	v_fma_f32 v61, v32, v75, -v36
	v_mov_b32_e32 v32, 0xcccd
	v_mul_u32_u24_sdwa v33, v163, v32 dst_sel:DWORD dst_unused:UNUSED_PAD src0_sel:WORD_0 src1_sel:DWORD
	v_lshrrev_b32_e32 v91, 19, v33
	v_mul_lo_u16 v33, v91, 10
	v_sub_nc_u16 v92, v163, v33
	v_lshlrev_b16 v33, 2, v92
	v_lshlrev_b32_sdwa v33, v204, v33 dst_sel:DWORD dst_unused:UNUSED_PAD src0_sel:DWORD src1_sel:WORD_0
	s_clause 0x1
	global_load_dwordx4 v[84:87], v33, s[10:11] offset:16
	global_load_dwordx4 v[36:39], v33, s[10:11]
	s_waitcnt vmcnt(0)
	buffer_store_dword v36, off, s[20:23], 0 offset:548 ; 4-byte Folded Spill
	buffer_store_dword v37, off, s[20:23], 0 offset:552 ; 4-byte Folded Spill
	buffer_store_dword v38, off, s[20:23], 0 offset:556 ; 4-byte Folded Spill
	buffer_store_dword v39, off, s[20:23], 0 offset:560 ; 4-byte Folded Spill
	v_mul_f32_e32 v118, v40, v85
	v_fmac_f32_e32 v118, v41, v84
	v_mul_f32_e32 v33, v63, v37
	v_fma_f32 v75, v62, v36, -v33
	v_mul_f32_e32 v33, v45, v39
	v_mul_f32_e32 v62, v62, v37
	v_fma_f32 v115, v44, v38, -v33
	v_mul_f32_e32 v33, v41, v85
	v_fmac_f32_e32 v62, v63, v36
	v_mul_f32_e32 v63, v44, v39
	v_mov_b32_e32 v41, v81
	v_mov_b32_e32 v39, v248
	v_fma_f32 v119, v40, v84, -v33
	v_mul_f32_e32 v33, v35, v87
	v_fmac_f32_e32 v63, v45, v38
	v_mov_b32_e32 v40, v124
	v_fma_f32 v77, v34, v86, -v33
	buffer_store_dword v84, off, s[20:23], 0 offset:384 ; 4-byte Folded Spill
	buffer_store_dword v85, off, s[20:23], 0 offset:388 ; 4-byte Folded Spill
	;; [unrolled: 1-line block ×4, first 2 shown]
	v_mul_u32_u24_sdwa v33, v164, v32 dst_sel:DWORD dst_unused:UNUSED_PAD src0_sel:WORD_0 src1_sel:DWORD
	v_lshrrev_b32_e32 v89, 19, v33
	v_mul_lo_u16 v33, v89, 10
	v_sub_nc_u16 v90, v164, v33
	v_lshlrev_b16 v33, 2, v90
	v_lshlrev_b32_sdwa v33, v204, v33 dst_sel:DWORD dst_unused:UNUSED_PAD src0_sel:DWORD src1_sel:WORD_0
	v_mul_f32_e32 v120, v34, v87
	v_fmac_f32_e32 v120, v35, v86
	s_clause 0x1
	global_load_dwordx4 v[34:37], v33, s[10:11] offset:16
	global_load_dwordx4 v[44:47], v33, s[10:11]
	s_waitcnt vmcnt(1)
	buffer_store_dword v34, off, s[20:23], 0 offset:572 ; 4-byte Folded Spill
	buffer_store_dword v35, off, s[20:23], 0 offset:576 ; 4-byte Folded Spill
	;; [unrolled: 1-line block ×4, first 2 shown]
	s_waitcnt vmcnt(0) lgkmcnt(8)
	v_mul_f32_e32 v33, v29, v45
	v_mul_f32_e32 v110, v28, v45
	v_fma_f32 v113, v28, v44, -v33
	s_waitcnt lgkmcnt(7)
	v_mul_f32_e32 v28, v25, v47
	v_fmac_f32_e32 v110, v29, v44
	v_fma_f32 v114, v24, v46, -v28
	v_mul_f32_e32 v24, v24, v47
	v_fmac_f32_e32 v24, v25, v46
	s_waitcnt lgkmcnt(6)
	v_mul_f32_e32 v25, v21, v35
	v_mul_f32_e32 v111, v20, v35
	s_waitcnt lgkmcnt(5)
	v_mul_f32_e32 v112, v16, v37
	v_fma_f32 v116, v20, v34, -v25
	v_mul_f32_e32 v20, v17, v37
	v_fmac_f32_e32 v112, v17, v36
	v_fmac_f32_e32 v111, v21, v34
	v_fma_f32 v117, v16, v36, -v20
	v_mul_u32_u24_sdwa v16, v202, v32 dst_sel:DWORD dst_unused:UNUSED_PAD src0_sel:WORD_0 src1_sel:DWORD
	v_mov_b32_e32 v36, v123
	v_lshrrev_b32_e32 v87, 19, v16
	v_mov_b32_e32 v43, v36
	v_mul_lo_u16 v16, v87, 10
	v_sub_nc_u16 v88, v202, v16
	v_lshlrev_b16 v16, 2, v88
	v_lshlrev_b32_sdwa v16, v204, v16 dst_sel:DWORD dst_unused:UNUSED_PAD src0_sel:DWORD src1_sel:WORD_0
	s_clause 0x1
	global_load_dwordx4 v[95:98], v16, s[10:11] offset:16
	global_load_dwordx4 v[99:102], v16, s[10:11]
	s_waitcnt vmcnt(0)
	buffer_store_dword v99, off, s[20:23], 0 offset:368 ; 4-byte Folded Spill
	buffer_store_dword v100, off, s[20:23], 0 offset:372 ; 4-byte Folded Spill
	;; [unrolled: 1-line block ×8, first 2 shown]
	v_mul_f32_e32 v17, v27, v102
	v_mul_f32_e32 v105, v26, v102
	;; [unrolled: 1-line block ×5, first 2 shown]
	v_fma_f32 v108, v26, v101, -v17
	v_mul_f32_e32 v17, v23, v96
	v_fmac_f32_e32 v105, v27, v101
	v_fma_f32 v25, v30, v99, -v16
	v_mul_f32_e32 v16, v30, v100
	v_fmac_f32_e32 v107, v19, v97
	;; [unrolled: 3-line block ×3, first 2 shown]
	v_fmac_f32_e32 v16, v31, v99
	v_fma_f32 v109, v18, v97, -v17
	v_mul_u32_u24_sdwa v17, v252, v32 dst_sel:DWORD dst_unused:UNUSED_PAD src0_sel:WORD_0 src1_sel:DWORD
	v_lshrrev_b32_e32 v85, 19, v17
	v_mul_lo_u16 v17, v85, 10
	v_sub_nc_u16 v86, v252, v17
	v_lshlrev_b16 v17, 2, v86
	v_lshlrev_b32_sdwa v17, v204, v17 dst_sel:DWORD dst_unused:UNUSED_PAD src0_sel:DWORD src1_sel:WORD_0
	s_clause 0x1
	global_load_dwordx4 v[18:21], v17, s[10:11] offset:16
	global_load_dwordx4 v[28:31], v17, s[10:11]
	s_waitcnt vmcnt(0)
	buffer_store_dword v28, off, s[20:23], 0 offset:352 ; 4-byte Folded Spill
	buffer_store_dword v29, off, s[20:23], 0 offset:356 ; 4-byte Folded Spill
	;; [unrolled: 1-line block ×8, first 2 shown]
	s_waitcnt lgkmcnt(3)
	v_mul_f32_e32 v17, v13, v29
	v_mul_f32_e32 v101, v12, v29
	s_waitcnt lgkmcnt(2)
	v_mul_f32_e32 v102, v8, v31
	v_fma_f32 v17, v12, v28, -v17
	v_mul_f32_e32 v12, v9, v31
	v_fmac_f32_e32 v101, v13, v28
	v_fmac_f32_e32 v102, v9, v30
	v_fma_f32 v13, v8, v30, -v12
	s_waitcnt lgkmcnt(1)
	v_mul_f32_e32 v8, v5, v19
	v_fma_f32 v103, v4, v18, -v8
	v_mul_f32_e32 v4, v4, v19
	v_fmac_f32_e32 v4, v5, v18
	s_waitcnt lgkmcnt(0)
	v_mul_f32_e32 v5, v1, v21
	v_fma_f32 v104, v0, v20, -v5
	v_mul_f32_e32 v0, v0, v21
	v_fmac_f32_e32 v0, v1, v20
	v_mul_u32_u24_sdwa v1, v251, v32 dst_sel:DWORD dst_unused:UNUSED_PAD src0_sel:WORD_0 src1_sel:DWORD
	v_lshrrev_b32_e32 v79, 19, v1
	v_mul_lo_u16 v1, v79, 10
	v_sub_nc_u16 v84, v251, v1
	v_lshlrev_b16 v1, 2, v84
	v_lshlrev_b32_sdwa v1, v204, v1 dst_sel:DWORD dst_unused:UNUSED_PAD src0_sel:DWORD src1_sel:WORD_0
	global_load_dwordx4 v[18:21], v1, s[10:11] offset:16
	s_waitcnt vmcnt(0)
	buffer_store_dword v18, off, s[20:23], 0 offset:288 ; 4-byte Folded Spill
	buffer_store_dword v19, off, s[20:23], 0 offset:292 ; 4-byte Folded Spill
	;; [unrolled: 1-line block ×4, first 2 shown]
	global_load_dwordx4 v[28:31], v1, s[10:11]
	s_waitcnt vmcnt(0)
	buffer_store_dword v28, off, s[20:23], 0 offset:304 ; 4-byte Folded Spill
	buffer_store_dword v29, off, s[20:23], 0 offset:308 ; 4-byte Folded Spill
	buffer_store_dword v30, off, s[20:23], 0 offset:312 ; 4-byte Folded Spill
	buffer_store_dword v31, off, s[20:23], 0 offset:316 ; 4-byte Folded Spill
	v_mul_f32_e32 v97, v6, v19
	v_mul_f32_e32 v98, v2, v21
	s_waitcnt_vscnt null, 0x0
	s_barrier
	buffer_gl0_inv
	v_fmac_f32_e32 v97, v7, v18
	v_fmac_f32_e32 v98, v3, v20
	v_sub_f32_e32 v34, v98, v97
	v_sub_f32_e32 v35, v97, v98
	v_mul_f32_e32 v1, v15, v29
	v_mul_f32_e32 v96, v10, v31
	;; [unrolled: 1-line block ×3, first 2 shown]
	v_fma_f32 v5, v14, v28, -v1
	v_mul_f32_e32 v1, v11, v31
	v_fmac_f32_e32 v96, v11, v30
	v_fmac_f32_e32 v95, v15, v28
	v_fma_f32 v99, v10, v30, -v1
	v_mul_f32_e32 v1, v7, v19
	v_fma_f32 v100, v6, v18, -v1
	v_mul_f32_e32 v1, v3, v21
	v_sub_f32_e32 v3, v69, v71
	v_sub_f32_e32 v6, v61, v72
	v_fma_f32 v7, v2, v20, -v1
	v_add_f32_e32 v1, v56, v69
	v_sub_f32_e32 v2, v65, v66
	v_add_f32_e32 v3, v3, v6
	v_sub_f32_e32 v6, v72, v61
	v_sub_f32_e32 v32, v7, v100
	v_add_f32_e32 v1, v1, v71
	v_sub_f32_e32 v33, v100, v7
	v_add_f32_e32 v1, v1, v72
	v_add_f32_e32 v30, v1, v61
	;; [unrolled: 1-line block ×3, first 2 shown]
	v_fma_f32 v20, -0.5, v1, v56
	v_sub_f32_e32 v1, v64, v67
	v_fmamk_f32 v60, v1, 0x3f737871, v20
	v_fmac_f32_e32 v20, 0xbf737871, v1
	v_fmac_f32_e32 v60, 0x3f167918, v2
	v_fmac_f32_e32 v20, 0xbf167918, v2
	v_fmac_f32_e32 v60, 0x3e9e377a, v3
	v_fmac_f32_e32 v20, 0x3e9e377a, v3
	v_add_f32_e32 v3, v69, v61
	v_fma_f32 v68, -0.5, v3, v56
	v_sub_f32_e32 v3, v71, v69
	v_fmamk_f32 v70, v2, 0xbf737871, v68
	v_fmac_f32_e32 v68, 0x3f737871, v2
	v_add_f32_e32 v3, v3, v6
	v_sub_f32_e32 v2, v71, v72
	v_sub_f32_e32 v6, v67, v66
	v_fmac_f32_e32 v70, 0x3f167918, v1
	v_fmac_f32_e32 v68, 0xbf167918, v1
	v_add_f32_e32 v1, v57, v64
	v_fmac_f32_e32 v70, 0x3e9e377a, v3
	v_fmac_f32_e32 v68, 0x3e9e377a, v3
	v_add_f32_e32 v1, v1, v65
	v_sub_f32_e32 v3, v64, v65
	v_add_f32_e32 v1, v1, v66
	v_add_f32_e32 v3, v3, v6
	v_sub_f32_e32 v6, v66, v67
	v_add_f32_e32 v31, v1, v67
	v_add_f32_e32 v1, v65, v66
	v_fma_f32 v21, -0.5, v1, v57
	v_sub_f32_e32 v1, v69, v61
	v_fmamk_f32 v61, v1, 0xbf737871, v21
	v_fmac_f32_e32 v21, 0x3f737871, v1
	v_fmac_f32_e32 v61, 0xbf167918, v2
	v_fmac_f32_e32 v21, 0x3f167918, v2
	v_fmac_f32_e32 v61, 0x3e9e377a, v3
	v_fmac_f32_e32 v21, 0x3e9e377a, v3
	v_add_f32_e32 v3, v64, v67
	v_fma_f32 v69, -0.5, v3, v57
	v_sub_f32_e32 v3, v65, v64
	v_fmamk_f32 v71, v2, 0x3f737871, v69
	v_fmac_f32_e32 v69, 0xbf737871, v2
	v_add_f32_e32 v3, v3, v6
	v_sub_f32_e32 v2, v63, v118
	v_sub_f32_e32 v6, v77, v119
	v_fmac_f32_e32 v71, 0xbf167918, v1
	v_fmac_f32_e32 v69, 0x3f167918, v1
	v_add_f32_e32 v1, v58, v75
	v_fmac_f32_e32 v71, 0x3e9e377a, v3
	v_fmac_f32_e32 v69, 0x3e9e377a, v3
	v_add_f32_e32 v1, v1, v115
	v_sub_f32_e32 v3, v75, v115
	v_add_f32_e32 v1, v1, v119
	v_add_f32_e32 v3, v3, v6
	v_sub_f32_e32 v6, v119, v77
	v_add_f32_e32 v72, v1, v77
	v_add_f32_e32 v1, v115, v119
	;; [unrolled: 28-line block ×3, first 2 shown]
	v_fma_f32 v67, -0.5, v1, v59
	v_sub_f32_e32 v1, v75, v77
	v_fmamk_f32 v77, v1, 0xbf737871, v67
	v_fmac_f32_e32 v67, 0x3f737871, v1
	v_fmac_f32_e32 v77, 0xbf167918, v2
	;; [unrolled: 1-line block ×5, first 2 shown]
	v_add_f32_e32 v3, v62, v120
	v_fmac_f32_e32 v59, -0.5, v3
	v_sub_f32_e32 v3, v63, v62
	v_fmamk_f32 v75, v2, 0x3f737871, v59
	v_fmac_f32_e32 v59, 0xbf737871, v2
	v_add_f32_e32 v3, v3, v6
	v_sub_f32_e32 v2, v24, v111
	v_sub_f32_e32 v6, v117, v116
	v_fmac_f32_e32 v75, 0xbf167918, v1
	v_fmac_f32_e32 v59, 0x3f167918, v1
	v_add_f32_e32 v1, v52, v113
	v_fmac_f32_e32 v75, 0x3e9e377a, v3
	v_fmac_f32_e32 v59, 0x3e9e377a, v3
	v_add_f32_e32 v1, v1, v114
	v_sub_f32_e32 v3, v113, v114
	v_add_f32_e32 v1, v1, v116
	v_add_f32_e32 v3, v3, v6
	v_sub_f32_e32 v6, v116, v117
	v_add_f32_e32 v62, v1, v117
	v_add_f32_e32 v1, v114, v116
	v_fma_f32 v28, -0.5, v1, v52
	v_sub_f32_e32 v1, v110, v112
	v_fmamk_f32 v64, v1, 0x3f737871, v28
	v_fmac_f32_e32 v28, 0xbf737871, v1
	v_fmac_f32_e32 v64, 0x3f167918, v2
	v_fmac_f32_e32 v28, 0xbf167918, v2
	v_fmac_f32_e32 v64, 0x3e9e377a, v3
	v_fmac_f32_e32 v28, 0x3e9e377a, v3
	v_add_f32_e32 v3, v113, v117
	v_fma_f32 v52, -0.5, v3, v52
	v_sub_f32_e32 v3, v114, v113
	v_fmamk_f32 v56, v2, 0xbf737871, v52
	v_fmac_f32_e32 v52, 0x3f737871, v2
	v_add_f32_e32 v3, v3, v6
	v_sub_f32_e32 v2, v114, v116
	v_sub_f32_e32 v6, v112, v111
	v_fmac_f32_e32 v56, 0x3f167918, v1
	v_fmac_f32_e32 v52, 0xbf167918, v1
	v_add_f32_e32 v1, v53, v110
	v_fmac_f32_e32 v56, 0x3e9e377a, v3
	v_fmac_f32_e32 v52, 0x3e9e377a, v3
	v_add_f32_e32 v1, v1, v24
	v_sub_f32_e32 v3, v110, v24
	v_add_f32_e32 v1, v1, v111
	v_add_f32_e32 v3, v3, v6
	v_sub_f32_e32 v6, v111, v112
	v_add_f32_e32 v63, v1, v112
	v_add_f32_e32 v1, v24, v111
	v_fma_f32 v29, -0.5, v1, v53
	v_sub_f32_e32 v1, v113, v117
	v_fmamk_f32 v65, v1, 0xbf737871, v29
	v_fmac_f32_e32 v29, 0x3f737871, v1
	v_fmac_f32_e32 v65, 0xbf167918, v2
	v_fmac_f32_e32 v29, 0x3f167918, v2
	v_fmac_f32_e32 v65, 0x3e9e377a, v3
	v_fmac_f32_e32 v29, 0x3e9e377a, v3
	v_add_f32_e32 v3, v110, v112
	v_fma_f32 v53, -0.5, v3, v53
	;; [unrolled: 28-line block ×3, first 2 shown]
	v_sub_f32_e32 v3, v108, v25
	v_fmamk_f32 v26, v2, 0xbf737871, v54
	v_fmac_f32_e32 v54, 0x3f737871, v2
	v_add_f32_e32 v3, v3, v6
	v_sub_f32_e32 v2, v108, v27
	v_sub_f32_e32 v6, v107, v106
	v_fmac_f32_e32 v26, 0x3f167918, v1
	v_fmac_f32_e32 v54, 0xbf167918, v1
	v_add_f32_e32 v1, v55, v16
	v_fmac_f32_e32 v26, 0x3e9e377a, v3
	v_fmac_f32_e32 v54, 0x3e9e377a, v3
	v_add_f32_e32 v1, v1, v105
	v_sub_f32_e32 v3, v16, v105
	v_add_f32_e32 v1, v1, v106
	v_add_f32_e32 v3, v3, v6
	v_sub_f32_e32 v6, v106, v107
	v_add_f32_e32 v23, v1, v107
	v_add_f32_e32 v1, v105, v106
	v_fma_f32 v19, -0.5, v1, v55
	v_sub_f32_e32 v1, v25, v109
	v_fmamk_f32 v25, v1, 0xbf737871, v19
	v_fmac_f32_e32 v19, 0x3f737871, v1
	v_fmac_f32_e32 v25, 0xbf167918, v2
	;; [unrolled: 1-line block ×5, first 2 shown]
	v_add_f32_e32 v3, v16, v107
	v_fmac_f32_e32 v55, -0.5, v3
	v_sub_f32_e32 v3, v105, v16
	v_fmamk_f32 v27, v2, 0x3f737871, v55
	v_fmac_f32_e32 v55, 0xbf737871, v2
	v_add_f32_e32 v3, v3, v6
	v_sub_f32_e32 v2, v102, v4
	v_sub_f32_e32 v6, v104, v103
	v_fmac_f32_e32 v27, 0xbf167918, v1
	v_fmac_f32_e32 v55, 0x3f167918, v1
	v_add_f32_e32 v1, v48, v17
	v_fmac_f32_e32 v27, 0x3e9e377a, v3
	v_fmac_f32_e32 v55, 0x3e9e377a, v3
	v_add_f32_e32 v1, v1, v13
	v_sub_f32_e32 v3, v17, v13
	v_add_f32_e32 v1, v1, v103
	v_add_f32_e32 v3, v3, v6
	v_sub_f32_e32 v6, v103, v104
	v_add_f32_e32 v14, v1, v104
	v_add_f32_e32 v1, v13, v103
	v_fma_f32 v8, -0.5, v1, v48
	v_sub_f32_e32 v1, v101, v0
	v_fmamk_f32 v16, v1, 0x3f737871, v8
	v_fmac_f32_e32 v8, 0xbf737871, v1
	v_fmac_f32_e32 v16, 0x3f167918, v2
	;; [unrolled: 1-line block ×5, first 2 shown]
	v_add_f32_e32 v3, v17, v104
	v_fma_f32 v10, -0.5, v3, v48
	v_sub_f32_e32 v3, v13, v17
	v_fmamk_f32 v12, v2, 0xbf737871, v10
	v_fmac_f32_e32 v10, 0x3f737871, v2
	v_add_f32_e32 v3, v3, v6
	v_sub_f32_e32 v2, v13, v103
	v_sub_f32_e32 v6, v0, v4
	v_fmac_f32_e32 v12, 0x3f167918, v1
	v_fmac_f32_e32 v10, 0xbf167918, v1
	v_add_f32_e32 v1, v49, v101
	v_fmac_f32_e32 v12, 0x3e9e377a, v3
	v_fmac_f32_e32 v10, 0x3e9e377a, v3
	v_add_f32_e32 v1, v1, v102
	v_sub_f32_e32 v3, v101, v102
	v_add_f32_e32 v1, v1, v4
	v_add_f32_e32 v3, v3, v6
	v_sub_f32_e32 v6, v5, v99
	v_add_f32_e32 v15, v1, v0
	v_add_f32_e32 v1, v102, v4
	;; [unrolled: 1-line block ×3, first 2 shown]
	v_sub_f32_e32 v32, v99, v5
	v_fma_f32 v9, -0.5, v1, v49
	v_sub_f32_e32 v1, v17, v104
	v_add_f32_e32 v32, v32, v33
	v_sub_f32_e32 v33, v99, v100
	v_fmamk_f32 v17, v1, 0xbf737871, v9
	v_fmac_f32_e32 v9, 0x3f737871, v1
	v_fmac_f32_e32 v17, 0xbf167918, v2
	;; [unrolled: 1-line block ×5, first 2 shown]
	v_add_f32_e32 v3, v101, v0
	v_sub_f32_e32 v0, v4, v0
	v_fma_f32 v11, -0.5, v3, v49
	v_sub_f32_e32 v3, v102, v101
	v_fmamk_f32 v13, v2, 0x3f737871, v11
	v_fmac_f32_e32 v11, 0xbf737871, v2
	v_add_f32_e32 v0, v3, v0
	v_sub_f32_e32 v3, v96, v97
	v_fmac_f32_e32 v13, 0xbf167918, v1
	v_fmac_f32_e32 v11, 0x3f167918, v1
	v_sub_f32_e32 v1, v95, v98
	v_fmac_f32_e32 v13, 0x3e9e377a, v0
	v_fmac_f32_e32 v11, 0x3e9e377a, v0
	v_add_f32_e32 v0, v50, v5
	v_add_f32_e32 v0, v0, v99
	;; [unrolled: 1-line block ×5, first 2 shown]
	v_fma_f32 v0, -0.5, v0, v50
	v_fmamk_f32 v4, v1, 0x3f737871, v0
	v_fmac_f32_e32 v0, 0xbf737871, v1
	v_fmac_f32_e32 v4, 0x3f167918, v3
	;; [unrolled: 1-line block ×5, first 2 shown]
	v_add_f32_e32 v6, v5, v7
	v_fma_f32 v50, -0.5, v6, v50
	v_fmamk_f32 v6, v3, 0xbf737871, v50
	v_fmac_f32_e32 v50, 0x3f737871, v3
	v_fmac_f32_e32 v6, 0x3f167918, v1
	;; [unrolled: 1-line block ×3, first 2 shown]
	v_add_f32_e32 v1, v51, v95
	v_fmac_f32_e32 v6, 0x3e9e377a, v32
	v_fmac_f32_e32 v50, 0x3e9e377a, v32
	v_add_f32_e32 v1, v1, v96
	v_sub_f32_e32 v32, v5, v7
	v_sub_f32_e32 v7, v95, v96
	v_add_f32_e32 v1, v1, v97
	v_add_f32_e32 v7, v7, v34
	v_sub_f32_e32 v34, v96, v95
	v_add_f32_e32 v3, v1, v98
	v_add_f32_e32 v1, v96, v97
	;; [unrolled: 1-line block ×3, first 2 shown]
	v_fma_f32 v1, -0.5, v1, v51
	v_fmamk_f32 v5, v32, 0xbf737871, v1
	v_fmac_f32_e32 v1, 0x3f737871, v32
	v_fmac_f32_e32 v5, 0xbf167918, v33
	;; [unrolled: 1-line block ×5, first 2 shown]
	v_add_f32_e32 v7, v95, v98
	v_fmac_f32_e32 v51, -0.5, v7
	v_fmamk_f32 v7, v33, 0x3f737871, v51
	v_fmac_f32_e32 v51, 0xbf737871, v33
	v_fmac_f32_e32 v7, 0xbf167918, v32
	;; [unrolled: 1-line block ×3, first 2 shown]
	v_mov_b32_e32 v32, 50
	v_fmac_f32_e32 v7, 0x3e9e377a, v34
	v_fmac_f32_e32 v51, 0x3e9e377a, v34
	v_mul_u32_u24_sdwa v32, v94, v32 dst_sel:DWORD dst_unused:UNUSED_PAD src0_sel:WORD_0 src1_sel:DWORD
	v_add_lshl_u32 v32, v32, v93, 3
	buffer_store_dword v32, off, s[20:23], 0 offset:420 ; 4-byte Folded Spill
	ds_write2_b64 v32, v[30:31], v[60:61] offset1:10
	ds_write2_b64 v32, v[70:71], v[68:69] offset0:20 offset1:30
	ds_write_b64 v32, v[20:21] offset:320
	v_mad_u16 v20, v91, 50, v92
	v_mul_lo_u16 v32, v78, 41
	v_lshlrev_b32_sdwa v20, v204, v20 dst_sel:DWORD dst_unused:UNUSED_PAD src0_sel:DWORD src1_sel:WORD_0
	ds_write2_b64 v20, v[72:73], v[76:77] offset1:10
	ds_write2_b64 v20, v[74:75], v[58:59] offset0:20 offset1:30
	buffer_store_dword v20, off, s[20:23], 0 offset:436 ; 4-byte Folded Spill
	ds_write_b64 v20, v[66:67] offset:320
	v_mad_u16 v20, v89, 50, v90
	v_lshrrev_b16 v125, 11, v32
	v_lshlrev_b32_sdwa v20, v204, v20 dst_sel:DWORD dst_unused:UNUSED_PAD src0_sel:DWORD src1_sel:WORD_0
	v_mul_lo_u16 v32, v125, 50
	ds_write2_b64 v20, v[62:63], v[64:65] offset1:10
	buffer_store_dword v20, off, s[20:23], 0 offset:432 ; 4-byte Folded Spill
	ds_write2_b64 v20, v[56:57], v[52:53] offset0:20 offset1:30
	ds_write_b64 v20, v[28:29] offset:320
	v_mad_u16 v20, v87, 50, v88
	v_sub_nc_u16 v32, v203, v32
	v_lshlrev_b32_sdwa v20, v204, v20 dst_sel:DWORD dst_unused:UNUSED_PAD src0_sel:DWORD src1_sel:WORD_0
	ds_write2_b64 v20, v[22:23], v[24:25] offset1:10
	ds_write2_b64 v20, v[26:27], v[54:55] offset0:20 offset1:30
	ds_write_b64 v20, v[18:19] offset:320
	v_mad_u16 v18, v85, 50, v86
	buffer_store_dword v20, off, s[20:23], 0 offset:440 ; 4-byte Folded Spill
	v_lshlrev_b32_sdwa v18, v204, v18 dst_sel:DWORD dst_unused:UNUSED_PAD src0_sel:DWORD src1_sel:WORD_0
	ds_write2_b64 v18, v[14:15], v[16:17] offset1:10
	buffer_store_dword v18, off, s[20:23], 0 offset:424 ; 4-byte Folded Spill
	ds_write2_b64 v18, v[12:13], v[10:11] offset0:20 offset1:30
	ds_write_b64 v18, v[8:9] offset:320
	v_mad_u16 v8, v79, 50, v84
	v_mov_b32_e32 v84, 0x147b
	v_lshlrev_b32_sdwa v8, v204, v8 dst_sel:DWORD dst_unused:UNUSED_PAD src0_sel:DWORD src1_sel:WORD_0
	ds_write2_b64 v8, v[2:3], v[4:5] offset1:10
	ds_write2_b64 v8, v[6:7], v[50:51] offset0:20 offset1:30
	buffer_store_dword v8, off, s[20:23], 0 offset:428 ; 4-byte Folded Spill
	ds_write_b64 v8, v[0:1] offset:320
	s_waitcnt lgkmcnt(0)
	s_waitcnt_vscnt null, 0x0
	s_barrier
	buffer_gl0_inv
	ds_read2_b64 v[104:107], v80 offset1:135
	ds_read2_b64 v[48:51], v123 offset0:70 offset1:205
	ds_read2_b64 v[54:57], v225 offset0:12 offset1:147
	;; [unrolled: 1-line block ×9, first 2 shown]
	v_and_b32_e32 v124, 0xff, v32
	ds_read2_b64 v[12:15], v121 offset0:112 offset1:247
	ds_read2_b64 v[8:11], v254 offset0:54 offset1:189
	ds_read2_b64 v[88:91], v83 offset0:56 offset1:191
	ds_read2_b64 v[4:7], v224 offset0:62 offset1:197
	ds_read2_b64 v[0:3], v253 offset0:68 offset1:203
	v_lshrrev_b16 v123, 1, v202
	v_lshlrev_b32_e32 v32, 4, v124
	global_load_dwordx4 v[58:61], v32, s[10:11] offset:320
	s_waitcnt vmcnt(0)
	buffer_store_dword v58, off, s[20:23], 0 offset:404 ; 4-byte Folded Spill
	buffer_store_dword v59, off, s[20:23], 0 offset:408 ; 4-byte Folded Spill
	;; [unrolled: 1-line block ×4, first 2 shown]
	s_waitcnt lgkmcnt(13)
	v_mul_f32_e32 v32, v49, v59
	s_waitcnt lgkmcnt(12)
	v_mul_f32_e32 v111, v54, v61
	v_mul_f32_e32 v109, v48, v59
	v_fma_f32 v108, v48, v58, -v32
	v_mul_f32_e32 v32, v55, v61
	v_fmac_f32_e32 v111, v55, v60
	v_fmac_f32_e32 v109, v49, v58
	v_fma_f32 v110, v54, v60, -v32
	v_lshrrev_b16 v32, 1, v163
	v_mul_u32_u24_sdwa v32, v32, v84 dst_sel:DWORD dst_unused:UNUSED_PAD src0_sel:WORD_0 src1_sel:DWORD
	v_lshrrev_b32_e32 v126, 17, v32
	v_mul_lo_u16 v32, v126, 50
	v_sub_nc_u16 v127, v163, v32
	v_lshlrev_b16 v32, 4, v127
	v_and_b32_e32 v32, 0xffff, v32
	v_add_co_u32 v32, s2, s10, v32
	v_add_co_ci_u32_e64 v33, null, s11, 0, s2
	global_load_dwordx4 v[52:55], v[32:33], off offset:320
	s_waitcnt vmcnt(0)
	v_mul_f32_e32 v32, v51, v53
	v_mul_f32_e32 v153, v56, v55
	;; [unrolled: 1-line block ×3, first 2 shown]
	v_fma_f32 v115, v50, v52, -v32
	v_mul_f32_e32 v32, v57, v55
	v_fmac_f32_e32 v153, v57, v54
	v_fmac_f32_e32 v151, v51, v52
	v_fma_f32 v152, v56, v54, -v32
	v_mul_u32_u24_sdwa v32, v128, v84 dst_sel:DWORD dst_unused:UNUSED_PAD src0_sel:WORD_0 src1_sel:DWORD
	v_lshrrev_b32_e32 v132, 17, v32
	v_mul_lo_u16 v32, v132, 50
	v_sub_nc_u16 v133, v164, v32
	v_lshlrev_b16 v32, 4, v133
	v_and_b32_e32 v32, 0xffff, v32
	v_add_co_u32 v32, s2, s10, v32
	v_add_co_ci_u32_e64 v33, null, s11, 0, s2
	global_load_dwordx4 v[56:59], v[32:33], off offset:320
	s_waitcnt vmcnt(0) lgkmcnt(10)
	v_mul_f32_e32 v32, v29, v57
	v_fma_f32 v154, v28, v56, -v32
	v_mul_f32_e32 v28, v28, v57
	v_fmac_f32_e32 v28, v29, v56
	s_waitcnt lgkmcnt(9)
	v_mul_f32_e32 v29, v25, v59
	v_fma_f32 v29, v24, v58, -v29
	v_mul_f32_e32 v24, v24, v59
	v_fmac_f32_e32 v24, v25, v58
	v_mul_u32_u24_sdwa v25, v123, v84 dst_sel:DWORD dst_unused:UNUSED_PAD src0_sel:WORD_0 src1_sel:DWORD
	v_lshrrev_b32_e32 v134, 17, v25
	v_mul_lo_u16 v25, v134, 50
	v_sub_nc_u16 v135, v202, v25
	v_lshlrev_b16 v25, 4, v135
	v_and_b32_e32 v25, 0xffff, v25
	v_add_co_u32 v32, s2, s10, v25
	v_add_co_ci_u32_e64 v33, null, s11, 0, s2
	global_load_dwordx4 v[60:63], v[32:33], off offset:320
	s_waitcnt vmcnt(0)
	v_mul_f32_e32 v25, v31, v61
	v_mul_f32_e32 v155, v30, v61
	v_fma_f32 v25, v30, v60, -v25
	v_mul_f32_e32 v30, v27, v63
	v_fmac_f32_e32 v155, v31, v60
	v_fma_f32 v156, v26, v62, -v30
	v_mul_f32_e32 v26, v26, v63
	v_fmac_f32_e32 v26, v27, v62
	v_mul_u32_u24_sdwa v27, v141, v84 dst_sel:DWORD dst_unused:UNUSED_PAD src0_sel:WORD_0 src1_sel:DWORD
	v_lshrrev_b32_e32 v136, 17, v27
	v_mul_lo_u16 v27, v136, 50
	v_sub_nc_u16 v137, v252, v27
	v_lshlrev_b16 v27, 4, v137
	v_and_b32_e32 v27, 0xffff, v27
	v_add_co_u32 v30, s2, s10, v27
	v_add_co_ci_u32_e64 v31, null, s11, 0, s2
	global_load_dwordx4 v[64:67], v[30:31], off offset:320
	s_waitcnt vmcnt(0) lgkmcnt(7)
	v_mul_f32_e32 v27, v21, v65
	s_waitcnt lgkmcnt(6)
	v_mul_f32_e32 v32, v16, v67
	v_fma_f32 v157, v20, v64, -v27
	v_mul_f32_e32 v20, v20, v65
	v_fmac_f32_e32 v32, v17, v66
	v_fmac_f32_e32 v20, v21, v64
	v_mul_f32_e32 v21, v17, v67
	v_fma_f32 v21, v16, v66, -v21
	v_mul_u32_u24_sdwa v16, v129, v84 dst_sel:DWORD dst_unused:UNUSED_PAD src0_sel:WORD_0 src1_sel:DWORD
	v_lshrrev_b32_e32 v138, 17, v16
	v_mul_lo_u16 v16, v138, 50
	v_sub_nc_u16 v139, v251, v16
	v_lshlrev_b16 v16, 4, v139
	v_and_b32_e32 v16, 0xffff, v16
	v_add_co_u32 v16, s2, s10, v16
	v_add_co_ci_u32_e64 v17, null, s11, 0, s2
	global_load_dwordx4 v[68:71], v[16:17], off offset:320
	s_waitcnt vmcnt(0)
	v_mul_f32_e32 v16, v23, v69
	v_mul_f32_e32 v34, v22, v69
	v_fma_f32 v33, v22, v68, -v16
	v_mul_f32_e32 v16, v19, v71
	v_fmac_f32_e32 v34, v23, v68
	v_fma_f32 v23, v18, v70, -v16
	v_mul_u32_u24_sdwa v16, v130, v84 dst_sel:DWORD dst_unused:UNUSED_PAD src0_sel:WORD_0 src1_sel:DWORD
	v_mul_f32_e32 v18, v18, v71
	v_lshrrev_b32_e32 v143, 17, v16
	v_fmac_f32_e32 v18, v19, v70
	v_mul_lo_u16 v16, v143, 50
	v_sub_nc_u16 v144, v234, v16
	v_lshlrev_b16 v16, 4, v144
	v_and_b32_e32 v16, 0xffff, v16
	v_add_co_u32 v16, s2, s10, v16
	v_add_co_ci_u32_e64 v17, null, s11, 0, s2
	global_load_dwordx4 v[72:75], v[16:17], off offset:320
	s_waitcnt vmcnt(0) lgkmcnt(4)
	v_mul_f32_e32 v16, v13, v73
	s_waitcnt lgkmcnt(3)
	v_mul_f32_e32 v35, v8, v75
	v_fma_f32 v19, v12, v72, -v16
	v_mul_f32_e32 v12, v12, v73
	v_fmac_f32_e32 v35, v9, v74
	v_fmac_f32_e32 v12, v13, v72
	v_mul_f32_e32 v13, v9, v75
	v_fma_f32 v13, v8, v74, -v13
	v_mul_u32_u24_sdwa v8, v131, v84 dst_sel:DWORD dst_unused:UNUSED_PAD src0_sel:WORD_0 src1_sel:DWORD
	v_lshrrev_b32_e32 v145, 17, v8
	v_mul_lo_u16 v8, v145, 50
	v_sub_nc_u16 v146, v238, v8
	v_lshlrev_b16 v8, 4, v146
	v_and_b32_e32 v8, 0xffff, v8
	v_add_co_u32 v8, s2, s10, v8
	v_add_co_ci_u32_e64 v9, null, s11, 0, s2
	global_load_dwordx4 v[76:79], v[8:9], off offset:320
	s_waitcnt vmcnt(0)
	v_mul_f32_e32 v8, v15, v77
	v_mul_f32_e32 v159, v14, v77
	;; [unrolled: 1-line block ×3, first 2 shown]
	v_fma_f32 v158, v14, v76, -v8
	v_mul_f32_e32 v8, v11, v79
	v_fmac_f32_e32 v159, v15, v76
	v_fmac_f32_e32 v161, v11, v78
	v_fma_f32 v160, v10, v78, -v8
	v_mul_u32_u24_sdwa v8, v140, v84 dst_sel:DWORD dst_unused:UNUSED_PAD src0_sel:WORD_0 src1_sel:DWORD
	v_lshrrev_b32_e32 v147, 17, v8
	v_mul_lo_u16 v8, v147, 50
	v_sub_nc_u16 v148, v255, v8
	v_lshlrev_b16 v8, 4, v148
	v_and_b32_e32 v8, 0xffff, v8
	v_add_co_u32 v8, s2, s10, v8
	v_add_co_ci_u32_e64 v9, null, s11, 0, s2
	global_load_dwordx4 v[48:51], v[8:9], off offset:320
	s_waitcnt vmcnt(0) lgkmcnt(1)
	v_mul_f32_e32 v8, v5, v49
	v_mul_f32_e32 v165, v4, v49
	v_fma_f32 v9, v4, v48, -v8
	s_waitcnt lgkmcnt(0)
	v_mul_f32_e32 v4, v1, v51
	v_fmac_f32_e32 v165, v5, v48
	v_mul_f32_e32 v5, v0, v51
	v_fma_f32 v166, v0, v50, -v4
	v_mul_u32_u24_sdwa v0, v142, v84 dst_sel:DWORD dst_unused:UNUSED_PAD src0_sel:WORD_0 src1_sel:DWORD
	v_fmac_f32_e32 v5, v1, v50
	v_lshrrev_b32_e32 v149, 17, v0
	v_mul_lo_u16 v0, v149, 50
	v_sub_nc_u16 v150, v236, v0
	v_lshlrev_b16 v0, 4, v150
	v_and_b32_e32 v0, 0xffff, v0
	v_add_co_u32 v0, s2, s10, v0
	v_add_co_ci_u32_e64 v1, null, s11, 0, s2
	global_load_dwordx4 v[84:87], v[0:1], off offset:320
	s_waitcnt vmcnt(0)
	s_waitcnt_vscnt null, 0x0
	s_barrier
	buffer_gl0_inv
	v_mul_f32_e32 v0, v7, v85
	v_mul_f32_e32 v168, v6, v85
	;; [unrolled: 1-line block ×3, first 2 shown]
	v_fma_f32 v167, v6, v84, -v0
	v_mul_f32_e32 v0, v3, v87
	v_fmac_f32_e32 v168, v7, v84
	v_fmac_f32_e32 v170, v3, v86
	v_fma_f32 v169, v2, v86, -v0
	v_add_f32_e32 v0, v104, v108
	v_add_f32_e32 v3, v168, v170
	;; [unrolled: 1-line block ×5, first 2 shown]
	v_fma_f32 v116, -0.5, v0, v104
	v_sub_f32_e32 v0, v109, v111
	v_fmamk_f32 v120, v0, 0x3f5db3d7, v116
	v_fmac_f32_e32 v116, 0xbf5db3d7, v0
	v_add_f32_e32 v0, v105, v109
	v_add_f32_e32 v119, v0, v111
	v_add_f32_e32 v0, v109, v111
	v_fma_f32 v117, -0.5, v0, v105
	v_sub_f32_e32 v0, v108, v110
	v_fmamk_f32 v121, v0, 0xbf5db3d7, v117
	v_fmac_f32_e32 v117, 0x3f5db3d7, v0
	v_add_f32_e32 v0, v106, v115
	v_add_f32_e32 v112, v0, v152
	v_add_f32_e32 v0, v115, v152
	;; [unrolled: 7-line block ×3, first 2 shown]
	v_fmac_f32_e32 v107, -0.5, v0
	v_sub_f32_e32 v0, v115, v152
	v_fmamk_f32 v115, v0, 0xbf5db3d7, v107
	v_fmac_f32_e32 v107, 0x3f5db3d7, v0
	v_add_f32_e32 v0, v100, v154
	v_add_f32_e32 v108, v0, v29
	v_add_f32_e32 v0, v154, v29
	v_fma_f32 v104, -0.5, v0, v100
	v_sub_f32_e32 v0, v28, v24
	v_fmamk_f32 v110, v0, 0x3f5db3d7, v104
	v_fmac_f32_e32 v104, 0xbf5db3d7, v0
	v_add_f32_e32 v0, v101, v28
	v_add_f32_e32 v109, v0, v24
	v_add_f32_e32 v0, v28, v24
	v_fma_f32 v105, -0.5, v0, v101
	;; [unrolled: 7-line block ×3, first 2 shown]
	v_sub_f32_e32 v0, v155, v26
	v_fmamk_f32 v100, v0, 0x3f5db3d7, v102
	v_fmac_f32_e32 v102, 0xbf5db3d7, v0
	v_add_f32_e32 v0, v103, v155
	v_add_f32_e32 v31, v0, v26
	;; [unrolled: 1-line block ×3, first 2 shown]
	v_fmac_f32_e32 v103, -0.5, v0
	v_sub_f32_e32 v0, v25, v156
	v_fmamk_f32 v101, v0, 0xbf5db3d7, v103
	v_fmac_f32_e32 v103, 0x3f5db3d7, v0
	v_add_f32_e32 v0, v96, v157
	v_add_f32_e32 v26, v0, v21
	;; [unrolled: 1-line block ×3, first 2 shown]
	v_fma_f32 v24, -0.5, v0, v96
	v_sub_f32_e32 v0, v20, v32
	v_fmamk_f32 v28, v0, 0x3f5db3d7, v24
	v_fmac_f32_e32 v24, 0xbf5db3d7, v0
	v_add_f32_e32 v0, v97, v20
	v_add_f32_e32 v27, v0, v32
	;; [unrolled: 1-line block ×3, first 2 shown]
	v_sub_f32_e32 v32, v167, v169
	v_fma_f32 v25, -0.5, v0, v97
	v_sub_f32_e32 v0, v157, v21
	v_fmamk_f32 v29, v0, 0xbf5db3d7, v25
	v_fmac_f32_e32 v25, 0x3f5db3d7, v0
	v_add_f32_e32 v0, v98, v33
	v_add_f32_e32 v20, v0, v23
	v_add_f32_e32 v0, v33, v23
	v_fma_f32 v98, -0.5, v0, v98
	v_sub_f32_e32 v0, v34, v18
	v_fmamk_f32 v22, v0, 0x3f5db3d7, v98
	v_fmac_f32_e32 v98, 0xbf5db3d7, v0
	v_add_f32_e32 v0, v99, v34
	v_add_f32_e32 v21, v0, v18
	;; [unrolled: 1-line block ×3, first 2 shown]
	v_mov_b32_e32 v34, 0xda75
	v_fmac_f32_e32 v99, -0.5, v0
	v_sub_f32_e32 v0, v33, v23
	v_fmamk_f32 v23, v0, 0xbf5db3d7, v99
	v_fmac_f32_e32 v99, 0x3f5db3d7, v0
	v_add_f32_e32 v0, v92, v19
	v_add_f32_e32 v16, v0, v13
	v_add_f32_e32 v0, v19, v13
	v_fma_f32 v14, -0.5, v0, v92
	v_sub_f32_e32 v0, v12, v35
	v_fmamk_f32 v18, v0, 0x3f5db3d7, v14
	v_fmac_f32_e32 v14, 0xbf5db3d7, v0
	v_add_f32_e32 v0, v93, v12
	v_add_f32_e32 v17, v0, v35
	v_add_f32_e32 v0, v12, v35
	v_fma_f32 v15, -0.5, v0, v93
	;; [unrolled: 7-line block ×3, first 2 shown]
	v_sub_f32_e32 v0, v159, v161
	v_fmamk_f32 v12, v0, 0x3f5db3d7, v94
	v_fmac_f32_e32 v94, 0xbf5db3d7, v0
	v_add_f32_e32 v0, v95, v159
	v_add_f32_e32 v11, v0, v161
	;; [unrolled: 1-line block ×3, first 2 shown]
	v_fmac_f32_e32 v95, -0.5, v0
	v_sub_f32_e32 v0, v158, v160
	v_fmamk_f32 v13, v0, 0xbf5db3d7, v95
	v_fmac_f32_e32 v95, 0x3f5db3d7, v0
	v_add_f32_e32 v0, v88, v9
	v_add_f32_e32 v6, v0, v166
	;; [unrolled: 1-line block ×3, first 2 shown]
	v_fma_f32 v4, -0.5, v0, v88
	v_sub_f32_e32 v0, v165, v5
	v_fmamk_f32 v8, v0, 0x3f5db3d7, v4
	v_fmac_f32_e32 v4, 0xbf5db3d7, v0
	v_add_f32_e32 v0, v89, v165
	v_add_f32_e32 v7, v0, v5
	;; [unrolled: 1-line block ×3, first 2 shown]
	v_fma_f32 v5, -0.5, v0, v89
	v_sub_f32_e32 v0, v9, v166
	v_fmamk_f32 v9, v0, 0xbf5db3d7, v5
	v_fmac_f32_e32 v5, 0x3f5db3d7, v0
	v_add_f32_e32 v0, v90, v167
	v_fma_f32 v90, -0.5, v1, v90
	v_sub_f32_e32 v1, v168, v170
	v_add_f32_e32 v0, v0, v169
	v_fmamk_f32 v2, v1, 0x3f5db3d7, v90
	v_fmac_f32_e32 v90, 0xbf5db3d7, v1
	v_add_f32_e32 v1, v91, v168
	v_fmac_f32_e32 v91, -0.5, v3
	v_add_f32_e32 v1, v1, v170
	v_fmamk_f32 v3, v32, 0xbf5db3d7, v91
	v_fmac_f32_e32 v91, 0x3f5db3d7, v32
	v_mov_b32_e32 v32, 0x96
	v_mul_u32_u24_sdwa v32, v125, v32 dst_sel:DWORD dst_unused:UNUSED_PAD src0_sel:WORD_0 src1_sel:DWORD
	v_add_lshl_u32 v32, v32, v124, 3
	buffer_store_dword v32, off, s[20:23], 0 offset:444 ; 4-byte Folded Spill
	ds_write2_b64 v32, v[118:119], v[120:121] offset1:50
	ds_write_b64 v32, v[116:117] offset:800
	v_mad_u16 v32, 0x96, v126, v127
	v_lshlrev_b32_sdwa v32, v204, v32 dst_sel:DWORD dst_unused:UNUSED_PAD src0_sel:DWORD src1_sel:WORD_0
	buffer_store_dword v32, off, s[20:23], 0 offset:448 ; 4-byte Folded Spill
	ds_write2_b64 v32, v[112:113], v[114:115] offset1:50
	ds_write_b64 v32, v[106:107] offset:800
	v_mad_u16 v32, 0x96, v132, v133
	v_lshlrev_b32_sdwa v32, v204, v32 dst_sel:DWORD dst_unused:UNUSED_PAD src0_sel:DWORD src1_sel:WORD_0
	;; [unrolled: 5-line block ×5, first 2 shown]
	buffer_store_dword v24, off, s[20:23], 0 offset:464 ; 4-byte Folded Spill
	ds_write2_b64 v24, v[20:21], v[22:23] offset1:50
	ds_write_b64 v24, v[98:99] offset:800
	v_mad_u16 v20, 0x96, v143, v144
	v_lshlrev_b32_e32 v24, 4, v171
	v_lshlrev_b32_sdwa v20, v204, v20 dst_sel:DWORD dst_unused:UNUSED_PAD src0_sel:DWORD src1_sel:WORD_0
	v_add_co_u32 v31, s2, s10, v24
	v_add_co_ci_u32_e64 v205, null, s11, 0, s2
	buffer_store_dword v20, off, s[20:23], 0 offset:468 ; 4-byte Folded Spill
	ds_write2_b64 v20, v[16:17], v[18:19] offset1:50
	ds_write_b64 v20, v[14:15] offset:800
	v_mad_u16 v14, 0x96, v145, v146
	v_lshlrev_b32_sdwa v14, v204, v14 dst_sel:DWORD dst_unused:UNUSED_PAD src0_sel:DWORD src1_sel:WORD_0
	buffer_store_dword v14, off, s[20:23], 0 offset:472 ; 4-byte Folded Spill
	ds_write2_b64 v14, v[10:11], v[12:13] offset1:50
	ds_write_b64 v14, v[94:95] offset:800
	v_mad_u16 v10, 0x96, v147, v148
	v_lshlrev_b32_sdwa v10, v204, v10 dst_sel:DWORD dst_unused:UNUSED_PAD src0_sel:DWORD src1_sel:WORD_0
	;; [unrolled: 5-line block ×3, first 2 shown]
	buffer_store_dword v4, off, s[20:23], 0 offset:480 ; 4-byte Folded Spill
	ds_write2_b64 v4, v[0:1], v[2:3] offset1:50
	ds_write_b64 v4, v[90:91] offset:800
	s_waitcnt lgkmcnt(0)
	s_waitcnt_vscnt null, 0x0
	s_barrier
	buffer_gl0_inv
	ds_read2_b64 v[4:7], v80 offset1:135
	ds_read2_b64 v[94:97], v36 offset0:70 offset1:205
	ds_read2_b64 v[98:101], v225 offset0:12 offset1:147
	;; [unrolled: 1-line block ×14, first 2 shown]
	global_load_dwordx4 v[88:91], v24, s[10:11] offset:1120
	buffer_store_dword v208, off, s[20:23], 0 offset:248 ; 4-byte Folded Spill
	s_waitcnt vmcnt(0) lgkmcnt(13)
	v_mul_f32_e32 v24, v95, v89
	v_mul_f32_e32 v28, v94, v89
	s_waitcnt lgkmcnt(12)
	v_mul_f32_e32 v29, v98, v91
	v_fma_f32 v26, v94, v88, -v24
	v_mul_f32_e32 v24, v99, v91
	v_fmac_f32_e32 v28, v95, v88
	v_fmac_f32_e32 v29, v99, v90
	v_fma_f32 v27, v98, v90, -v24
	v_add_co_u32 v24, s2, v171, -15
	v_add_co_ci_u32_e64 v25, null, 0, -1, s2
	v_cndmask_b32_e32 v24, v24, v163, vcc_lo
	v_cndmask_b32_e32 v25, v25, v122, vcc_lo
	v_lshlrev_b64 v[32:33], 4, v[24:25]
	v_add_co_u32 v32, vcc_lo, s10, v32
	v_add_co_ci_u32_e32 v33, vcc_lo, s11, v33, vcc_lo
	v_cmp_lt_u16_e32 vcc_lo, 14, v203
	global_load_dwordx4 v[92:95], v[32:33], off offset:1120
	s_waitcnt vmcnt(0)
	v_mul_f32_e32 v32, v101, v95
	v_mul_f32_e32 v25, v97, v93
	;; [unrolled: 1-line block ×4, first 2 shown]
	v_fma_f32 v143, v100, v94, -v32
	v_mul_u32_u24_sdwa v32, v128, v34 dst_sel:DWORD dst_unused:UNUSED_PAD src0_sel:WORD_0 src1_sel:DWORD
	v_fma_f32 v25, v96, v92, -v25
	v_fmac_f32_e32 v30, v97, v92
	v_fmac_f32_e32 v145, v101, v94
	v_lshrrev_b32_e32 v165, 22, v32
	v_mul_lo_u16 v32, 0x96, v165
	v_sub_nc_u16 v166, v164, v32
	v_lshlrev_b16 v32, 4, v166
	v_and_b32_e32 v32, 0xffff, v32
	v_add_co_u32 v32, s2, s10, v32
	v_add_co_ci_u32_e64 v33, null, s11, 0, s2
	global_load_dwordx4 v[96:99], v[32:33], off offset:1120
	s_waitcnt vmcnt(0) lgkmcnt(10)
	v_mul_f32_e32 v32, v103, v97
	v_mul_f32_e32 v147, v102, v97
	s_waitcnt lgkmcnt(9)
	v_mul_f32_e32 v180, v106, v99
	v_fma_f32 v144, v102, v96, -v32
	v_mul_f32_e32 v32, v107, v99
	v_fmac_f32_e32 v147, v103, v96
	v_fmac_f32_e32 v180, v107, v98
	v_fma_f32 v151, v106, v98, -v32
	v_mul_u32_u24_sdwa v32, v123, v34 dst_sel:DWORD dst_unused:UNUSED_PAD src0_sel:WORD_0 src1_sel:DWORD
	v_lshrrev_b32_e32 v167, 22, v32
	v_mul_lo_u16 v32, 0x96, v167
	v_sub_nc_u16 v168, v202, v32
	v_lshlrev_b16 v32, 4, v168
	v_and_b32_e32 v32, 0xffff, v32
	v_add_co_u32 v32, s2, s10, v32
	v_add_co_ci_u32_e64 v33, null, s11, 0, s2
	global_load_dwordx4 v[100:103], v[32:33], off offset:1120
	s_waitcnt vmcnt(0)
	v_mul_f32_e32 v32, v105, v101
	v_mul_f32_e32 v182, v104, v101
	v_mul_f32_e32 v185, v108, v103
	v_fma_f32 v181, v104, v100, -v32
	v_mul_f32_e32 v32, v109, v103
	v_fmac_f32_e32 v182, v105, v100
	v_fmac_f32_e32 v185, v109, v102
	v_fma_f32 v183, v108, v102, -v32
	v_mul_u32_u24_sdwa v32, v141, v34 dst_sel:DWORD dst_unused:UNUSED_PAD src0_sel:WORD_0 src1_sel:DWORD
	v_lshrrev_b32_e32 v169, 22, v32
	v_mul_lo_u16 v32, 0x96, v169
	v_sub_nc_u16 v170, v252, v32
	v_lshlrev_b16 v32, 4, v170
	v_and_b32_e32 v32, 0xffff, v32
	v_add_co_u32 v32, s2, s10, v32
	v_add_co_ci_u32_e64 v33, null, s11, 0, s2
	global_load_dwordx4 v[104:107], v[32:33], off offset:1120
	s_waitcnt vmcnt(0) lgkmcnt(7)
	v_mul_f32_e32 v32, v111, v105
	v_mul_f32_e32 v186, v110, v105
	s_waitcnt lgkmcnt(6)
	v_mul_f32_e32 v188, v114, v107
	v_fma_f32 v184, v110, v104, -v32
	v_mul_f32_e32 v32, v115, v107
	v_fmac_f32_e32 v186, v111, v104
	v_fmac_f32_e32 v188, v115, v106
	v_fma_f32 v187, v114, v106, -v32
	v_mul_u32_u24_sdwa v32, v129, v34 dst_sel:DWORD dst_unused:UNUSED_PAD src0_sel:WORD_0 src1_sel:DWORD
	v_lshrrev_b32_e32 v171, 22, v32
	v_mul_lo_u16 v32, 0x96, v171
	v_sub_nc_u16 v172, v251, v32
	v_lshlrev_b16 v32, 4, v172
	v_and_b32_e32 v32, 0xffff, v32
	v_add_co_u32 v32, s2, s10, v32
	v_add_co_ci_u32_e64 v33, null, s11, 0, s2
	global_load_dwordx4 v[108:111], v[32:33], off offset:1120
	s_waitcnt vmcnt(0)
	v_mul_f32_e32 v32, v113, v109
	v_mul_f32_e32 v189, v112, v109
	v_mul_f32_e32 v191, v116, v111
	v_fma_f32 v35, v112, v108, -v32
	v_mul_f32_e32 v32, v117, v111
	v_fmac_f32_e32 v189, v113, v108
	v_fmac_f32_e32 v191, v117, v110
	v_fma_f32 v190, v116, v110, -v32
	v_mul_u32_u24_sdwa v32, v130, v34 dst_sel:DWORD dst_unused:UNUSED_PAD src0_sel:WORD_0 src1_sel:DWORD
	;; [unrolled: 37-line block ×3, first 2 shown]
	v_lshrrev_b32_e32 v177, 22, v16
	v_mul_lo_u16 v16, 0x96, v177
	v_sub_nc_u16 v178, v255, v16
	v_lshlrev_b16 v16, 4, v178
	v_and_b32_e32 v16, 0xffff, v16
	v_add_co_u32 v16, s2, s10, v16
	v_add_co_ci_u32_e64 v17, null, s11, 0, s2
	global_load_dwordx4 v[120:123], v[16:17], off offset:1120
	s_waitcnt vmcnt(0) lgkmcnt(1)
	v_mul_f32_e32 v16, v13, v121
	v_mul_f32_e32 v199, v12, v121
	s_waitcnt lgkmcnt(0)
	v_mul_f32_e32 v200, v8, v123
	v_fma_f32 v198, v12, v120, -v16
	v_mul_f32_e32 v12, v9, v123
	v_fmac_f32_e32 v199, v13, v120
	v_fmac_f32_e32 v200, v9, v122
	v_fma_f32 v13, v8, v122, -v12
	v_mul_u32_u24_sdwa v8, v142, v34 dst_sel:DWORD dst_unused:UNUSED_PAD src0_sel:WORD_0 src1_sel:DWORD
	v_lshrrev_b32_e32 v8, 22, v8
	v_mul_lo_u16 v8, 0x96, v8
	v_sub_nc_u16 v179, v236, v8
	v_lshlrev_b16 v8, 4, v179
	v_and_b32_e32 v8, 0xffff, v8
	v_add_co_u32 v8, s2, s10, v8
	v_add_co_ci_u32_e64 v9, null, s11, 0, s2
	global_load_dwordx4 v[128:131], v[8:9], off offset:1120
	s_waitcnt vmcnt(0)
	s_waitcnt_vscnt null, 0x0
	s_barrier
	buffer_gl0_inv
	v_mul_f32_e32 v8, v15, v129
	v_mul_f32_e32 v201, v14, v129
	;; [unrolled: 1-line block ×3, first 2 shown]
	v_fma_f32 v34, v14, v128, -v8
	v_mul_f32_e32 v8, v11, v131
	v_fmac_f32_e32 v201, v15, v128
	v_fmac_f32_e32 v207, v11, v130
	v_fma_f32 v206, v10, v130, -v8
	v_add_f32_e32 v8, v4, v26
	v_add_f32_e32 v158, v8, v27
	;; [unrolled: 1-line block ×3, first 2 shown]
	v_fma_f32 v152, -0.5, v8, v4
	v_sub_f32_e32 v4, v28, v29
	v_fmamk_f32 v160, v4, 0x3f5db3d7, v152
	v_fmac_f32_e32 v152, 0xbf5db3d7, v4
	v_add_f32_e32 v4, v5, v28
	v_add_f32_e32 v159, v4, v29
	;; [unrolled: 1-line block ×3, first 2 shown]
	v_fma_f32 v153, -0.5, v4, v5
	v_sub_f32_e32 v4, v26, v27
	v_add_f32_e32 v5, v201, v207
	v_fmamk_f32 v161, v4, 0xbf5db3d7, v153
	v_fmac_f32_e32 v153, 0x3f5db3d7, v4
	v_add_f32_e32 v4, v6, v25
	ds_write2_b64 v80, v[158:159], v[160:161] offset1:150
	ds_write_b64 v80, v[152:153] offset:2400
	v_add_f32_e32 v154, v4, v143
	v_add_f32_e32 v4, v25, v143
	v_fma_f32 v6, -0.5, v4, v6
	v_sub_f32_e32 v4, v30, v145
	v_fmamk_f32 v156, v4, 0x3f5db3d7, v6
	v_fmac_f32_e32 v6, 0xbf5db3d7, v4
	v_add_f32_e32 v4, v7, v30
	v_add_f32_e32 v155, v4, v145
	v_add_f32_e32 v4, v30, v145
	v_fmac_f32_e32 v7, -0.5, v4
	v_sub_f32_e32 v4, v25, v143
	v_fmamk_f32 v157, v4, 0xbf5db3d7, v7
	v_fmac_f32_e32 v7, 0x3f5db3d7, v4
	v_add_f32_e32 v4, v0, v144
	v_add_f32_e32 v148, v4, v151
	;; [unrolled: 1-line block ×3, first 2 shown]
	v_fma_f32 v146, -0.5, v4, v0
	v_sub_f32_e32 v0, v147, v180
	v_fmamk_f32 v150, v0, 0x3f5db3d7, v146
	v_fmac_f32_e32 v146, 0xbf5db3d7, v0
	v_add_f32_e32 v0, v1, v147
	v_add_f32_e32 v149, v0, v180
	;; [unrolled: 1-line block ×3, first 2 shown]
	v_fma_f32 v147, -0.5, v0, v1
	v_sub_f32_e32 v0, v144, v151
	v_add_f32_e32 v1, v34, v206
	v_fmamk_f32 v151, v0, 0xbf5db3d7, v147
	v_fmac_f32_e32 v147, 0x3f5db3d7, v0
	v_add_f32_e32 v0, v2, v181
	v_add_f32_e32 v142, v0, v183
	;; [unrolled: 1-line block ×3, first 2 shown]
	v_fma_f32 v2, -0.5, v0, v2
	v_sub_f32_e32 v0, v182, v185
	v_fmamk_f32 v144, v0, 0x3f5db3d7, v2
	v_fmac_f32_e32 v2, 0xbf5db3d7, v0
	v_add_f32_e32 v0, v3, v182
	v_add_f32_e32 v143, v0, v185
	;; [unrolled: 1-line block ×3, first 2 shown]
	v_fmac_f32_e32 v3, -0.5, v0
	v_sub_f32_e32 v0, v181, v183
	v_fmamk_f32 v145, v0, 0xbf5db3d7, v3
	v_fmac_f32_e32 v3, 0x3f5db3d7, v0
	v_add_f32_e32 v0, v136, v184
	v_add_f32_e32 v140, v0, v187
	v_add_f32_e32 v0, v184, v187
	v_fma_f32 v29, -0.5, v0, v136
	v_sub_f32_e32 v0, v186, v188
	v_fmamk_f32 v136, v0, 0x3f5db3d7, v29
	v_fmac_f32_e32 v29, 0xbf5db3d7, v0
	v_add_f32_e32 v0, v137, v186
	v_add_f32_e32 v141, v0, v188
	v_add_f32_e32 v0, v186, v188
	v_fma_f32 v30, -0.5, v0, v137
	;; [unrolled: 7-line block ×3, first 2 shown]
	v_sub_f32_e32 v0, v189, v191
	v_fmamk_f32 v27, v0, 0x3f5db3d7, v138
	v_fmac_f32_e32 v138, 0xbf5db3d7, v0
	v_add_f32_e32 v0, v139, v189
	v_add_f32_e32 v26, v0, v191
	;; [unrolled: 1-line block ×3, first 2 shown]
	v_fmac_f32_e32 v139, -0.5, v0
	v_sub_f32_e32 v0, v35, v190
	v_fmamk_f32 v28, v0, 0xbf5db3d7, v139
	v_fmac_f32_e32 v139, 0x3f5db3d7, v0
	v_add_f32_e32 v0, v132, v32
	v_add_f32_e32 v20, v0, v192
	v_add_f32_e32 v0, v32, v192
	v_fma_f32 v18, -0.5, v0, v132
	v_sub_f32_e32 v0, v33, v193
	v_fmamk_f32 v22, v0, 0x3f5db3d7, v18
	v_fmac_f32_e32 v18, 0xbf5db3d7, v0
	v_add_f32_e32 v0, v133, v33
	v_add_f32_e32 v21, v0, v193
	v_add_f32_e32 v0, v33, v193
	v_fma_f32 v19, -0.5, v0, v133
	v_sub_f32_e32 v0, v32, v192
	v_sub_f32_e32 v32, v34, v206
	v_fmamk_f32 v23, v0, 0xbf5db3d7, v19
	v_fmac_f32_e32 v19, 0x3f5db3d7, v0
	v_add_f32_e32 v0, v134, v194
	v_add_f32_e32 v14, v0, v196
	;; [unrolled: 1-line block ×3, first 2 shown]
	v_fma_f32 v134, -0.5, v0, v134
	v_sub_f32_e32 v0, v195, v197
	v_fmamk_f32 v16, v0, 0x3f5db3d7, v134
	v_fmac_f32_e32 v134, 0xbf5db3d7, v0
	v_add_f32_e32 v0, v135, v195
	v_add_f32_e32 v15, v0, v197
	;; [unrolled: 1-line block ×3, first 2 shown]
	v_fmac_f32_e32 v135, -0.5, v0
	v_sub_f32_e32 v0, v194, v196
	v_fmamk_f32 v17, v0, 0xbf5db3d7, v135
	v_fmac_f32_e32 v135, 0x3f5db3d7, v0
	v_add_f32_e32 v0, v124, v198
	v_add_f32_e32 v10, v0, v13
	;; [unrolled: 1-line block ×3, first 2 shown]
	v_fma_f32 v8, -0.5, v0, v124
	v_sub_f32_e32 v0, v199, v200
	v_fmamk_f32 v12, v0, 0x3f5db3d7, v8
	v_fmac_f32_e32 v8, 0xbf5db3d7, v0
	v_add_f32_e32 v0, v125, v199
	v_add_f32_e32 v11, v0, v200
	;; [unrolled: 1-line block ×3, first 2 shown]
	v_fma_f32 v9, -0.5, v0, v125
	v_sub_f32_e32 v0, v198, v13
	v_fmamk_f32 v13, v0, 0xbf5db3d7, v9
	v_fmac_f32_e32 v9, 0x3f5db3d7, v0
	v_add_f32_e32 v0, v126, v34
	v_fma_f32 v126, -0.5, v1, v126
	v_sub_f32_e32 v1, v201, v207
	v_add_f32_e32 v0, v0, v206
	v_fmamk_f32 v4, v1, 0x3f5db3d7, v126
	v_fmac_f32_e32 v126, 0xbf5db3d7, v1
	v_add_f32_e32 v1, v127, v201
	v_fmac_f32_e32 v127, -0.5, v5
	v_add_f32_e32 v1, v1, v207
	v_fmamk_f32 v5, v32, 0xbf5db3d7, v127
	v_fmac_f32_e32 v127, 0x3f5db3d7, v32
	v_cndmask_b32_e64 v32, 0, 0x1c2, vcc_lo
	v_add_lshl_u32 v24, v24, v32, 3
	buffer_store_dword v24, off, s[20:23], 0 offset:488 ; 4-byte Folded Spill
	ds_write2_b64 v24, v[154:155], v[156:157] offset1:150
	ds_write_b64 v24, v[6:7] offset:2400
	v_mad_u16 v6, 0x1c2, v165, v166
	v_lshlrev_b32_sdwa v6, v204, v6 dst_sel:DWORD dst_unused:UNUSED_PAD src0_sel:DWORD src1_sel:WORD_0
	buffer_store_dword v6, off, s[20:23], 0 offset:492 ; 4-byte Folded Spill
	ds_write2_b64 v6, v[148:149], v[150:151] offset1:150
	ds_write_b64 v6, v[146:147] offset:2400
	v_mad_u16 v6, 0x1c2, v167, v168
	v_lshlrev_b32_sdwa v6, v204, v6 dst_sel:DWORD dst_unused:UNUSED_PAD src0_sel:DWORD src1_sel:WORD_0
	;; [unrolled: 5-line block ×6, first 2 shown]
	buffer_store_dword v2, off, s[20:23], 0 offset:520 ; 4-byte Folded Spill
	ds_write2_b64 v2, v[14:15], v[16:17] offset1:150
	ds_write_b64 v2, v[134:135] offset:2400
	v_mad_u16 v2, 0x1c2, v177, v178
	v_add_co_u32 v16, vcc_lo, 0x800, v31
	v_add_co_ci_u32_e32 v17, vcc_lo, 0, v205, vcc_lo
	v_lshlrev_b32_sdwa v2, v204, v2 dst_sel:DWORD dst_unused:UNUSED_PAD src0_sel:DWORD src1_sel:WORD_0
	buffer_store_dword v2, off, s[20:23], 0 offset:484 ; 4-byte Folded Spill
	ds_write2_b64 v2, v[10:11], v[12:13] offset1:150
	ds_write_b64 v2, v[8:9] offset:2400
	v_lshlrev_b32_sdwa v2, v204, v179 dst_sel:DWORD dst_unused:UNUSED_PAD src0_sel:DWORD src1_sel:WORD_0
	v_add_nc_u32_e32 v3, 0x7000, v2
	buffer_store_dword v2, off, s[20:23], 0 offset:508 ; 4-byte Folded Spill
	buffer_store_dword v3, off, s[20:23], 0 offset:500 ; 4-byte Folded Spill
	ds_write2_b64 v3, v[0:1], v[4:5] offset0:16 offset1:166
	ds_write_b64 v2, v[126:127] offset:31200
	s_waitcnt lgkmcnt(0)
	s_waitcnt_vscnt null, 0x0
	s_barrier
	buffer_gl0_inv
	ds_read2_b64 v[4:7], v80 offset1:135
	ds_read2_b64 v[21:24], v36 offset0:70 offset1:205
	ds_read2_b64 v[25:28], v225 offset0:12 offset1:147
	;; [unrolled: 1-line block ×14, first 2 shown]
	global_load_dwordx4 v[124:127], v[16:17], off offset:1472
	v_add_nc_u32_e32 v81, 0x2c00, v80
	s_waitcnt vmcnt(0) lgkmcnt(13)
	v_mul_f32_e32 v16, v22, v125
	v_mul_f32_e32 v20, v21, v125
	v_fma_f32 v18, v21, v124, -v16
	s_waitcnt lgkmcnt(12)
	v_mul_f32_e32 v16, v26, v127
	v_fmac_f32_e32 v20, v22, v124
	v_mul_f32_e32 v21, v25, v127
	v_fma_f32 v19, v25, v126, -v16
	v_lshlrev_b32_e32 v16, 4, v163
	v_fmac_f32_e32 v21, v26, v126
	v_add_co_u32 v239, s2, s10, v16
	v_add_co_ci_u32_e64 v241, null, s11, 0, s2
	v_add_co_u32 v16, vcc_lo, 0x800, v239
	v_add_co_ci_u32_e32 v17, vcc_lo, 0, v241, vcc_lo
	global_load_dwordx4 v[132:135], v[16:17], off offset:1472
	s_waitcnt vmcnt(0)
	v_mul_f32_e32 v16, v24, v133
	v_fma_f32 v22, v23, v132, -v16
	v_mul_f32_e32 v16, v28, v135
	v_mul_f32_e32 v23, v23, v133
	v_fma_f32 v26, v27, v134, -v16
	v_lshlrev_b32_e32 v16, 4, v164
	v_mul_f32_e32 v27, v27, v135
	v_fmac_f32_e32 v23, v24, v132
	v_mov_b32_e32 v164, 0x91a3
	v_add_co_u32 v206, s2, s10, v16
	v_add_co_ci_u32_e64 v207, null, s11, 0, s2
	v_fmac_f32_e32 v27, v28, v134
	v_add_co_u32 v16, vcc_lo, 0x800, v206
	v_add_co_ci_u32_e32 v17, vcc_lo, 0, v207, vcc_lo
	v_cmp_gt_u16_e32 vcc_lo, 45, v203
	global_load_dwordx4 v[136:139], v[16:17], off offset:1472
	s_waitcnt vmcnt(0) lgkmcnt(10)
	v_mul_f32_e32 v16, v141, v137
	s_waitcnt lgkmcnt(9)
	v_mul_f32_e32 v32, v144, v139
	v_mul_f32_e32 v29, v140, v137
	v_fma_f32 v28, v140, v136, -v16
	v_mul_f32_e32 v16, v145, v139
	v_fmac_f32_e32 v32, v145, v138
	v_fmac_f32_e32 v29, v141, v136
	v_fma_f32 v30, v144, v138, -v16
	v_add_co_u32 v16, s2, 0xffffffd3, v208
	v_add_co_ci_u32_e64 v17, null, 0, -1, s2
	v_cndmask_b32_e32 v16, v16, v202, vcc_lo
	v_cndmask_b32_e32 v17, v17, v162, vcc_lo
	v_lshlrev_b64 v[24:25], 4, v[16:17]
	v_add_co_u32 v17, vcc_lo, s10, v24
	v_add_co_ci_u32_e32 v25, vcc_lo, s11, v25, vcc_lo
	v_add_co_u32 v24, vcc_lo, 0x800, v17
	v_add_co_ci_u32_e32 v25, vcc_lo, 0, v25, vcc_lo
	global_load_dwordx4 v[148:151], v[24:25], off offset:1472
	s_waitcnt vmcnt(0)
	v_mul_f32_e32 v24, v147, v151
	v_mul_f32_e32 v35, v146, v151
	;; [unrolled: 1-line block ×4, first 2 shown]
	v_fma_f32 v34, v146, v150, -v24
	v_add_co_u32 v24, vcc_lo, 0x1000, v31
	v_add_co_ci_u32_e32 v25, vcc_lo, 0, v205, vcc_lo
	v_fmac_f32_e32 v35, v147, v150
	v_fma_f32 v17, v142, v148, -v17
	v_fmac_f32_e32 v33, v143, v148
	global_load_dwordx4 v[144:147], v[24:25], off offset:864
	s_waitcnt vmcnt(0) lgkmcnt(7)
	v_mul_f32_e32 v24, v153, v145
	v_mul_f32_e32 v214, v152, v145
	s_waitcnt lgkmcnt(6)
	v_mul_f32_e32 v216, v156, v147
	v_fma_f32 v213, v152, v144, -v24
	v_mul_f32_e32 v24, v157, v147
	v_fmac_f32_e32 v214, v153, v144
	v_fmac_f32_e32 v216, v157, v146
	v_fma_f32 v215, v156, v146, -v24
	v_add_co_u32 v24, vcc_lo, 0x1800, v31
	v_add_co_ci_u32_e32 v25, vcc_lo, 0, v205, vcc_lo
	global_load_dwordx4 v[140:143], v[24:25], off offset:976
	s_waitcnt vmcnt(0)
	v_mul_f32_e32 v24, v155, v141
	v_mul_f32_e32 v218, v154, v141
	;; [unrolled: 1-line block ×3, first 2 shown]
	v_fma_f32 v217, v154, v140, -v24
	v_mul_f32_e32 v24, v159, v143
	v_fmac_f32_e32 v218, v155, v140
	v_fmac_f32_e32 v220, v159, v142
	v_fma_f32 v219, v158, v142, -v24
	v_mul_u32_u24_sdwa v24, v234, v164 dst_sel:DWORD dst_unused:UNUSED_PAD src0_sel:WORD_0 src1_sel:DWORD
	v_lshrrev_b32_e32 v211, 24, v24
	v_mul_lo_u16 v24, 0x1c2, v211
	v_sub_nc_u16 v212, v234, v24
	v_lshlrev_b16 v24, 4, v212
	v_and_b32_e32 v24, 0xffff, v24
	v_add_co_u32 v24, s2, s10, v24
	v_add_co_ci_u32_e64 v25, null, s11, 0, s2
	v_add_co_u32 v24, vcc_lo, 0x800, v24
	v_add_co_ci_u32_e32 v25, vcc_lo, 0, v25, vcc_lo
	global_load_dwordx4 v[152:155], v[24:25], off offset:1472
	s_waitcnt vmcnt(0) lgkmcnt(4)
	v_mul_f32_e32 v24, v181, v153
	s_waitcnt lgkmcnt(3)
	v_mul_f32_e32 v226, v184, v155
	v_mul_f32_e32 v222, v180, v153
	v_fma_f32 v221, v180, v152, -v24
	v_mul_f32_e32 v24, v185, v155
	v_fmac_f32_e32 v226, v185, v154
	v_fmac_f32_e32 v222, v181, v152
	v_fma_f32 v223, v184, v154, -v24
	v_mul_u32_u24_sdwa v24, v238, v164 dst_sel:DWORD dst_unused:UNUSED_PAD src0_sel:WORD_0 src1_sel:DWORD
	v_lshrrev_b32_e32 v24, 24, v24
	v_mul_lo_u16 v24, 0x1c2, v24
	v_sub_nc_u16 v208, v238, v24
	v_lshlrev_b16 v24, 4, v208
	v_and_b32_e32 v24, 0xffff, v24
	v_add_co_u32 v24, s2, s10, v24
	v_add_co_ci_u32_e64 v25, null, s11, 0, s2
	v_add_co_u32 v24, vcc_lo, 0x800, v24
	v_add_co_ci_u32_e32 v25, vcc_lo, 0, v25, vcc_lo
	global_load_dwordx4 v[156:159], v[24:25], off offset:1472
	s_waitcnt vmcnt(0)
	v_mul_f32_e32 v24, v183, v157
	v_mul_f32_e32 v230, v186, v159
	;; [unrolled: 1-line block ×3, first 2 shown]
	v_fma_f32 v227, v182, v156, -v24
	v_mul_f32_e32 v24, v187, v159
	v_fmac_f32_e32 v230, v187, v158
	v_fmac_f32_e32 v228, v183, v156
	v_fma_f32 v229, v186, v158, -v24
	v_mul_u32_u24_sdwa v24, v255, v164 dst_sel:DWORD dst_unused:UNUSED_PAD src0_sel:WORD_0 src1_sel:DWORD
	v_lshrrev_b32_e32 v24, 24, v24
	v_mul_lo_u16 v24, 0x1c2, v24
	v_sub_nc_u16 v210, v255, v24
	v_lshlrev_b16 v24, 4, v210
	v_and_b32_e32 v24, 0xffff, v24
	v_add_co_u32 v24, s2, s10, v24
	v_add_co_ci_u32_e64 v25, null, s11, 0, s2
	v_add_co_u32 v24, vcc_lo, 0x800, v24
	v_add_co_ci_u32_e32 v25, vcc_lo, 0, v25, vcc_lo
	global_load_dwordx4 v[160:163], v[24:25], off offset:1472
	s_waitcnt vmcnt(0) lgkmcnt(1)
	v_mul_f32_e32 v24, v13, v161
	v_mul_f32_e32 v232, v12, v161
	s_waitcnt lgkmcnt(0)
	v_mul_f32_e32 v233, v8, v163
	v_fma_f32 v231, v12, v160, -v24
	v_mul_f32_e32 v12, v9, v163
	v_fmac_f32_e32 v232, v13, v160
	v_fmac_f32_e32 v233, v9, v162
	v_fma_f32 v13, v8, v162, -v12
	v_mul_u32_u24_sdwa v8, v236, v164 dst_sel:DWORD dst_unused:UNUSED_PAD src0_sel:WORD_0 src1_sel:DWORD
	v_lshrrev_b32_e32 v8, 24, v8
	v_mul_lo_u16 v8, 0x1c2, v8
	v_sub_nc_u16 v209, v236, v8
	v_lshlrev_b16 v8, 4, v209
	v_and_b32_e32 v8, 0xffff, v8
	v_add_co_u32 v8, s2, s10, v8
	v_add_co_ci_u32_e64 v9, null, s11, 0, s2
	v_add_co_u32 v8, vcc_lo, 0x800, v8
	v_add_co_ci_u32_e32 v9, vcc_lo, 0, v9, vcc_lo
	v_cmp_lt_u16_e32 vcc_lo, 44, v203
	global_load_dwordx4 v[164:167], v[8:9], off offset:1472
	s_waitcnt vmcnt(0)
	s_barrier
	buffer_gl0_inv
	v_mul_f32_e32 v8, v15, v165
	v_mul_f32_e32 v237, v14, v165
	;; [unrolled: 1-line block ×3, first 2 shown]
	v_fma_f32 v235, v14, v164, -v8
	v_mul_f32_e32 v8, v11, v167
	v_fmac_f32_e32 v237, v15, v164
	v_fmac_f32_e32 v247, v11, v166
	v_fma_f32 v240, v10, v166, -v8
	v_add_f32_e32 v8, v4, v18
	v_add_f32_e32 v188, v8, v19
	;; [unrolled: 1-line block ×3, first 2 shown]
	v_fma_f32 v190, -0.5, v8, v4
	v_sub_f32_e32 v4, v20, v21
	v_fmamk_f32 v192, v4, 0x3f5db3d7, v190
	v_fmac_f32_e32 v190, 0xbf5db3d7, v4
	v_add_f32_e32 v4, v5, v20
	v_add_f32_e32 v189, v4, v21
	;; [unrolled: 1-line block ×3, first 2 shown]
	v_fma_f32 v191, -0.5, v4, v5
	v_sub_f32_e32 v4, v18, v19
	v_add_f32_e32 v5, v237, v247
	v_fmamk_f32 v193, v4, 0xbf5db3d7, v191
	v_fmac_f32_e32 v191, 0x3f5db3d7, v4
	v_add_f32_e32 v4, v6, v22
	v_add_f32_e32 v200, v4, v26
	;; [unrolled: 1-line block ×3, first 2 shown]
	v_fma_f32 v6, -0.5, v4, v6
	v_sub_f32_e32 v4, v23, v27
	v_fmamk_f32 v194, v4, 0x3f5db3d7, v6
	v_fmac_f32_e32 v6, 0xbf5db3d7, v4
	v_add_f32_e32 v4, v7, v23
	v_add_f32_e32 v201, v4, v27
	;; [unrolled: 1-line block ×3, first 2 shown]
	v_fmac_f32_e32 v7, -0.5, v4
	v_sub_f32_e32 v4, v22, v26
	v_fmamk_f32 v195, v4, 0xbf5db3d7, v7
	v_fmac_f32_e32 v7, 0x3f5db3d7, v4
	v_add_f32_e32 v4, v0, v28
	v_add_f32_e32 v196, v4, v30
	v_add_f32_e32 v4, v28, v30
	v_fma_f32 v186, -0.5, v4, v0
	v_sub_f32_e32 v0, v29, v32
	v_fmamk_f32 v198, v0, 0x3f5db3d7, v186
	v_fmac_f32_e32 v186, 0xbf5db3d7, v0
	v_add_f32_e32 v0, v1, v29
	v_add_f32_e32 v197, v0, v32
	;; [unrolled: 1-line block ×3, first 2 shown]
	v_sub_f32_e32 v32, v235, v240
	v_fma_f32 v187, -0.5, v0, v1
	v_sub_f32_e32 v0, v28, v30
	v_add_f32_e32 v1, v235, v240
	v_fmamk_f32 v199, v0, 0xbf5db3d7, v187
	v_fmac_f32_e32 v187, 0x3f5db3d7, v0
	v_add_f32_e32 v0, v2, v17
	ds_write_b64 v80, v[192:193] offset:3600
	ds_write_b64 v80, v[190:191] offset:7200
	ds_write2_b64 v80, v[188:189], v[200:201] offset1:135
	ds_write_b64 v80, v[196:197] offset:2160
	ds_write2_b64 v82, v[194:195], v[198:199] offset0:73 offset1:208
	ds_write2_b64 v83, v[6:7], v[186:187] offset0:11 offset1:146
	v_cndmask_b32_e64 v6, 0, 0x546, vcc_lo
	v_add_f32_e32 v182, v0, v34
	v_add_f32_e32 v0, v17, v34
	v_add_lshl_u32 v6, v16, v6, 3
	v_fma_f32 v2, -0.5, v0, v2
	v_sub_f32_e32 v0, v33, v35
	v_fmamk_f32 v184, v0, 0x3f5db3d7, v2
	v_fmac_f32_e32 v2, 0xbf5db3d7, v0
	v_add_f32_e32 v0, v3, v33
	v_add_f32_e32 v183, v0, v35
	;; [unrolled: 1-line block ×3, first 2 shown]
	v_mov_b32_e32 v35, v254
	v_fmac_f32_e32 v3, -0.5, v0
	v_sub_f32_e32 v0, v17, v34
	v_mov_b32_e32 v34, v253
	v_fmamk_f32 v185, v0, 0xbf5db3d7, v3
	v_fmac_f32_e32 v3, 0x3f5db3d7, v0
	v_add_f32_e32 v0, v176, v213
	ds_write_b64 v6, v[182:183]
	ds_write_b64 v6, v[184:185] offset:3600
	buffer_store_dword v6, off, s[20:23], 0 offset:528 ; 4-byte Folded Spill
	ds_write_b64 v6, v[2:3] offset:7200
	v_add_f32_e32 v27, v0, v215
	v_add_f32_e32 v0, v213, v215
	v_add_nc_u32_e32 v2, 0x4800, v80
	v_fma_f32 v25, -0.5, v0, v176
	v_sub_f32_e32 v0, v214, v216
	v_fmamk_f32 v29, v0, 0x3f5db3d7, v25
	v_fmac_f32_e32 v25, 0xbf5db3d7, v0
	v_add_f32_e32 v0, v177, v214
	v_add_f32_e32 v28, v0, v216
	v_add_f32_e32 v0, v214, v216
	v_fma_f32 v26, -0.5, v0, v177
	v_sub_f32_e32 v0, v213, v215
	v_fmamk_f32 v30, v0, 0xbf5db3d7, v26
	v_fmac_f32_e32 v26, 0x3f5db3d7, v0
	v_add_f32_e32 v0, v178, v217
	v_add_f32_e32 v176, v0, v219
	v_add_f32_e32 v0, v217, v219
	v_fma_f32 v178, -0.5, v0, v178
	v_sub_f32_e32 v0, v218, v220
	v_fmamk_f32 v180, v0, 0x3f5db3d7, v178
	v_fmac_f32_e32 v178, 0xbf5db3d7, v0
	v_add_f32_e32 v0, v179, v218
	v_add_f32_e32 v177, v0, v220
	v_add_f32_e32 v0, v218, v220
	ds_write2_b64 v81, v[27:28], v[176:177] offset0:32 offset1:167
	v_fmac_f32_e32 v179, -0.5, v0
	v_sub_f32_e32 v0, v217, v219
	v_fmamk_f32 v181, v0, 0xbf5db3d7, v179
	v_fmac_f32_e32 v179, 0x3f5db3d7, v0
	v_add_f32_e32 v0, v172, v221
	ds_write2_b64 v248, v[29:30], v[180:181] offset0:98 offset1:233
	ds_write2_b64 v2, v[25:26], v[178:179] offset0:36 offset1:171
	v_add_f32_e32 v23, v0, v223
	v_add_f32_e32 v0, v221, v223
	v_mad_u16 v2, 0x546, v211, v212
	v_fma_f32 v19, -0.5, v0, v172
	v_sub_f32_e32 v0, v222, v226
	v_lshlrev_b32_sdwa v2, v204, v2 dst_sel:DWORD dst_unused:UNUSED_PAD src0_sel:DWORD src1_sel:WORD_0
	v_fmamk_f32 v21, v0, 0x3f5db3d7, v19
	v_fmac_f32_e32 v19, 0xbf5db3d7, v0
	v_add_f32_e32 v0, v173, v222
	buffer_store_dword v2, off, s[20:23], 0 offset:532 ; 4-byte Folded Spill
	v_add_f32_e32 v24, v0, v226
	v_add_f32_e32 v0, v222, v226
	ds_write_b64 v2, v[23:24]
	v_fma_f32 v20, -0.5, v0, v173
	v_sub_f32_e32 v0, v221, v223
	v_fmamk_f32 v22, v0, 0xbf5db3d7, v20
	v_fmac_f32_e32 v20, 0x3f5db3d7, v0
	v_add_f32_e32 v0, v174, v227
	ds_write_b64 v2, v[21:22] offset:3600
	ds_write_b64 v2, v[19:20] offset:7200
	v_lshlrev_b32_sdwa v2, v204, v208 dst_sel:DWORD dst_unused:UNUSED_PAD src0_sel:DWORD src1_sel:WORD_0
	v_add_f32_e32 v14, v0, v229
	v_add_f32_e32 v0, v227, v229
	v_add_co_u32 v20, vcc_lo, 0x2800, v31
	v_add_co_ci_u32_e32 v21, vcc_lo, 0, v205, vcc_lo
	v_fma_f32 v174, -0.5, v0, v174
	v_sub_f32_e32 v0, v228, v230
	v_fmamk_f32 v17, v0, 0x3f5db3d7, v174
	v_fmac_f32_e32 v174, 0xbf5db3d7, v0
	v_add_f32_e32 v0, v175, v228
	v_add_f32_e32 v15, v0, v230
	;; [unrolled: 1-line block ×3, first 2 shown]
	v_fmac_f32_e32 v175, -0.5, v0
	v_sub_f32_e32 v0, v227, v229
	v_fmamk_f32 v18, v0, 0xbf5db3d7, v175
	v_fmac_f32_e32 v175, 0x3f5db3d7, v0
	v_add_f32_e32 v0, v168, v231
	ds_write_b64 v2, v[14:15] offset:21600
	ds_write_b64 v2, v[17:18] offset:25200
	buffer_store_dword v2, off, s[20:23], 0 offset:536 ; 4-byte Folded Spill
	ds_write_b64 v2, v[174:175] offset:28800
	v_add_f32_e32 v10, v0, v13
	v_add_f32_e32 v0, v231, v13
	v_lshlrev_b32_sdwa v2, v204, v210 dst_sel:DWORD dst_unused:UNUSED_PAD src0_sel:DWORD src1_sel:WORD_0
	v_fma_f32 v8, -0.5, v0, v168
	v_sub_f32_e32 v0, v232, v233
	v_fmamk_f32 v12, v0, 0x3f5db3d7, v8
	v_fmac_f32_e32 v8, 0xbf5db3d7, v0
	v_add_f32_e32 v0, v169, v232
	v_add_f32_e32 v11, v0, v233
	;; [unrolled: 1-line block ×3, first 2 shown]
	v_fma_f32 v9, -0.5, v0, v169
	v_sub_f32_e32 v0, v231, v13
	v_fmamk_f32 v13, v0, 0xbf5db3d7, v9
	v_fmac_f32_e32 v9, 0x3f5db3d7, v0
	v_add_f32_e32 v0, v170, v235
	v_fma_f32 v170, -0.5, v1, v170
	v_sub_f32_e32 v1, v237, v247
	ds_write_b64 v2, v[10:11] offset:21600
	ds_write_b64 v2, v[12:13] offset:25200
	buffer_store_dword v2, off, s[20:23], 0 offset:540 ; 4-byte Folded Spill
	v_add_f32_e32 v0, v0, v240
	ds_write_b64 v2, v[8:9] offset:28800
	v_fmamk_f32 v4, v1, 0x3f5db3d7, v170
	v_fmac_f32_e32 v170, 0xbf5db3d7, v1
	v_add_f32_e32 v1, v171, v237
	v_fmac_f32_e32 v171, -0.5, v5
	v_lshlrev_b32_sdwa v2, v204, v209 dst_sel:DWORD dst_unused:UNUSED_PAD src0_sel:DWORD src1_sel:WORD_0
	v_add_f32_e32 v1, v1, v247
	v_fmamk_f32 v5, v32, 0xbf5db3d7, v171
	v_fmac_f32_e32 v171, 0x3f5db3d7, v32
	ds_write_b64 v2, v[0:1] offset:21600
	ds_write_b64 v2, v[4:5] offset:25200
	buffer_store_dword v2, off, s[20:23], 0 offset:544 ; 4-byte Folded Spill
	ds_write_b64 v2, v[170:171] offset:28800
	s_waitcnt lgkmcnt(0)
	s_waitcnt_vscnt null, 0x0
	s_barrier
	buffer_gl0_inv
	ds_read2_b64 v[16:19], v80 offset1:135
	ds_read2_b64 v[4:7], v36 offset0:70 offset1:205
	ds_read2_b64 v[8:11], v225 offset0:12 offset1:147
	;; [unrolled: 1-line block ×13, first 2 shown]
	global_load_dwordx4 v[168:171], v[20:21], off offset:480
	ds_read2_b64 v[0:3], v253 offset0:68 offset1:203
	v_add_nc_u32_e32 v36, 0x3c00, v80
	s_waitcnt vmcnt(0) lgkmcnt(13)
	v_mul_f32_e32 v20, v5, v169
	v_mul_f32_e32 v31, v4, v169
	s_waitcnt lgkmcnt(12)
	v_mul_f32_e32 v235, v8, v171
	v_fma_f32 v237, v4, v168, -v20
	v_mul_f32_e32 v4, v9, v171
	v_fmac_f32_e32 v31, v5, v168
	v_fmac_f32_e32 v235, v9, v170
	v_fma_f32 v32, v8, v170, -v4
	v_add_co_u32 v4, vcc_lo, 0x2800, v239
	v_add_co_ci_u32_e32 v5, vcc_lo, 0, v241, vcc_lo
	global_load_dwordx4 v[188:191], v[4:5], off offset:480
	s_waitcnt vmcnt(0)
	v_mul_f32_e32 v4, v7, v189
	v_mul_f32_e32 v240, v6, v189
	;; [unrolled: 1-line block ×3, first 2 shown]
	v_fma_f32 v28, v6, v188, -v4
	v_mul_f32_e32 v4, v11, v191
	v_fmac_f32_e32 v240, v7, v188
	v_fmac_f32_e32 v239, v11, v190
	v_fma_f32 v25, v10, v190, -v4
	v_add_co_u32 v4, vcc_lo, 0x2800, v206
	v_add_co_ci_u32_e32 v5, vcc_lo, 0, v207, vcc_lo
	global_load_dwordx4 v[204:207], v[4:5], off offset:480
	s_waitcnt vmcnt(0) lgkmcnt(10)
	v_mul_f32_e32 v4, v13, v205
	v_mul_f32_e32 v8, v12, v205
	s_waitcnt lgkmcnt(9)
	v_mul_f32_e32 v26, v172, v207
	v_fma_f32 v241, v12, v204, -v4
	v_mul_f32_e32 v4, v173, v207
	v_fmac_f32_e32 v8, v13, v204
	v_fmac_f32_e32 v26, v173, v206
	v_fma_f32 v20, v172, v206, -v4
	v_lshlrev_b32_e32 v4, 4, v202
	v_add_co_u32 v4, s2, s10, v4
	v_add_co_ci_u32_e64 v5, null, s11, 0, s2
	v_add_co_u32 v4, vcc_lo, 0x2800, v4
	v_add_co_ci_u32_e32 v5, vcc_lo, 0, v5, vcc_lo
	global_load_dwordx4 v[200:203], v[4:5], off offset:480
	s_waitcnt vmcnt(0)
	v_mul_f32_e32 v4, v15, v201
	v_mul_f32_e32 v9, v14, v201
	;; [unrolled: 1-line block ×3, first 2 shown]
	v_fma_f32 v24, v14, v200, -v4
	v_mul_f32_e32 v4, v175, v203
	v_fmac_f32_e32 v9, v15, v200
	v_fmac_f32_e32 v27, v175, v202
	v_fma_f32 v22, v174, v202, -v4
	v_lshlrev_b32_e32 v4, 4, v252
	v_add_co_u32 v4, s2, s10, v4
	v_add_co_ci_u32_e64 v5, null, s11, 0, s2
	v_add_co_u32 v4, vcc_lo, 0x2800, v4
	v_add_co_ci_u32_e32 v5, vcc_lo, 0, v5, vcc_lo
	global_load_dwordx4 v[196:199], v[4:5], off offset:480
	s_waitcnt vmcnt(0) lgkmcnt(7)
	v_mul_f32_e32 v4, v177, v197
	s_waitcnt lgkmcnt(6)
	v_mul_f32_e32 v29, v180, v199
	v_mul_f32_e32 v11, v176, v197
	v_fma_f32 v30, v176, v196, -v4
	v_mul_f32_e32 v4, v181, v199
	v_fmac_f32_e32 v29, v181, v198
	v_fmac_f32_e32 v11, v177, v196
	v_fma_f32 v23, v180, v198, -v4
	v_lshlrev_b32_e32 v4, 4, v251
	v_add_co_u32 v4, s2, s10, v4
	v_add_co_ci_u32_e64 v5, null, s11, 0, s2
	v_add_co_u32 v4, vcc_lo, 0x2800, v4
	v_add_co_ci_u32_e32 v5, vcc_lo, 0, v5, vcc_lo
	global_load_dwordx4 v[192:195], v[4:5], off offset:480
	v_lshlrev_b32_e32 v5, 4, v234
	v_add_co_u32 v5, s2, s10, v5
	v_add_co_ci_u32_e64 v6, null, s11, 0, s2
	v_add_co_u32 v5, vcc_lo, 0x2800, v5
	v_add_co_ci_u32_e32 v6, vcc_lo, 0, v6, vcc_lo
	global_load_dwordx4 v[184:187], v[5:6], off offset:480
	v_lshlrev_b32_e32 v6, 4, v238
	v_add_co_u32 v6, s2, s10, v6
	v_add_co_ci_u32_e64 v7, null, s11, 0, s2
	v_add_co_u32 v6, vcc_lo, 0x2800, v6
	v_add_co_ci_u32_e32 v7, vcc_lo, 0, v7, vcc_lo
	s_waitcnt vmcnt(1)
	v_mul_f32_e32 v4, v179, v193
	v_mul_f32_e32 v12, v178, v193
	v_fma_f32 v13, v178, v192, -v4
	v_mul_f32_e32 v4, v183, v195
	v_fmac_f32_e32 v12, v179, v192
	v_fma_f32 v252, v182, v194, -v4
	v_mul_f32_e32 v4, v182, v195
	v_fmac_f32_e32 v4, v183, v194
	global_load_dwordx4 v[180:183], v[6:7], off offset:480
	s_waitcnt vmcnt(1) lgkmcnt(4)
	v_mul_f32_e32 v5, v248, v185
	v_mul_f32_e32 v21, v247, v185
	v_fma_f32 v14, v247, v184, -v5
	v_fmac_f32_e32 v21, v248, v184
	s_waitcnt lgkmcnt(3)
	v_mul_f32_e32 v5, v227, v187
	v_fma_f32 v253, v226, v186, -v5
	v_mul_f32_e32 v5, v226, v187
	v_fmac_f32_e32 v5, v227, v186
	s_waitcnt vmcnt(0)
	v_mul_f32_e32 v6, v250, v181
	v_mul_f32_e32 v10, v228, v183
	v_fma_f32 v15, v249, v180, -v6
	v_mul_f32_e32 v6, v229, v183
	v_mul_f32_e32 v249, v249, v181
	v_fmac_f32_e32 v10, v229, v182
	v_fma_f32 v254, v228, v182, -v6
	v_lshlrev_b32_e32 v6, 4, v255
	v_fmac_f32_e32 v249, v250, v180
	v_add_co_u32 v6, s2, s10, v6
	v_add_co_ci_u32_e64 v7, null, s11, 0, s2
	v_add_co_u32 v6, vcc_lo, 0x2800, v6
	v_add_co_ci_u32_e32 v7, vcc_lo, 0, v7, vcc_lo
	global_load_dwordx4 v[176:179], v[6:7], off offset:480
	s_waitcnt vmcnt(0) lgkmcnt(1)
	v_mul_f32_e32 v6, v231, v177
	v_mul_f32_e32 v250, v230, v177
	v_fma_f32 v247, v230, v176, -v6
	s_waitcnt lgkmcnt(0)
	v_mul_f32_e32 v6, v1, v179
	v_fmac_f32_e32 v250, v231, v176
	v_fma_f32 v255, v0, v178, -v6
	v_mul_f32_e32 v6, v0, v179
	v_lshlrev_b32_e32 v0, 4, v236
	v_fmac_f32_e32 v6, v1, v178
	v_add_co_u32 v0, s2, s10, v0
	v_add_co_ci_u32_e64 v1, null, s11, 0, s2
	s_mov_b32 s2, 0xc0898b71
	v_add_co_u32 v0, vcc_lo, 0x2800, v0
	v_add_co_ci_u32_e32 v1, vcc_lo, 0, v1, vcc_lo
	s_mov_b32 s3, 0x3f302e85
	global_load_dwordx4 v[172:175], v[0:1], off offset:480
	v_sub_f32_e32 v1, v250, v6
	s_waitcnt vmcnt(0)
	v_mul_f32_e32 v0, v233, v173
	v_mul_f32_e32 v251, v232, v173
	;; [unrolled: 1-line block ×3, first 2 shown]
	v_fma_f32 v248, v232, v172, -v0
	v_mul_f32_e32 v0, v3, v175
	v_fmac_f32_e32 v251, v233, v172
	v_fmac_f32_e32 v7, v3, v174
	v_fma_f32 v33, v2, v174, -v0
	v_add_f32_e32 v0, v16, v237
	v_add_f32_e32 v230, v0, v32
	v_add_f32_e32 v0, v237, v32
	v_fma_f32 v232, -0.5, v0, v16
	v_sub_f32_e32 v0, v31, v235
	v_fmamk_f32 v234, v0, 0x3f5db3d7, v232
	v_fmac_f32_e32 v232, 0xbf5db3d7, v0
	v_add_f32_e32 v0, v17, v31
	v_add_f32_e32 v231, v0, v235
	v_add_f32_e32 v0, v31, v235
	v_fma_f32 v233, -0.5, v0, v17
	v_sub_f32_e32 v0, v237, v32
	v_fmamk_f32 v235, v0, 0xbf5db3d7, v233
	v_fmac_f32_e32 v233, 0x3f5db3d7, v0
	;; [unrolled: 7-line block ×3, first 2 shown]
	v_add_f32_e32 v0, v19, v240
	v_add_f32_e32 v237, v0, v239
	;; [unrolled: 1-line block ×3, first 2 shown]
	v_fmac_f32_e32 v19, -0.5, v0
	v_sub_f32_e32 v0, v28, v25
	v_fmamk_f32 v239, v0, 0xbf5db3d7, v19
	v_fmac_f32_e32 v19, 0x3f5db3d7, v0
	v_add_f32_e32 v0, v220, v241
	v_add_f32_e32 v31, v0, v20
	;; [unrolled: 1-line block ×3, first 2 shown]
	v_fma_f32 v228, -0.5, v0, v220
	v_sub_f32_e32 v0, v8, v26
	v_fmamk_f32 v240, v0, 0x3f5db3d7, v228
	v_fmac_f32_e32 v228, 0xbf5db3d7, v0
	v_add_f32_e32 v0, v221, v8
	v_add_f32_e32 v32, v0, v26
	;; [unrolled: 1-line block ×3, first 2 shown]
	v_mov_b32_e32 v8, v244
	v_fma_f32 v229, -0.5, v0, v221
	v_sub_f32_e32 v0, v241, v20
	v_fmamk_f32 v241, v0, 0xbf5db3d7, v229
	v_fmac_f32_e32 v229, 0x3f5db3d7, v0
	v_add_f32_e32 v0, v222, v24
	ds_write_b64 v80, v[234:235] offset:10800
	ds_write_b64 v80, v[232:233] offset:21600
	ds_write2_b64 v80, v[230:231], v[236:237] offset1:135
	ds_write2_b64 v81, v[238:239], v[240:241] offset0:77 offset1:212
	v_add_f32_e32 v220, v0, v22
	v_add_f32_e32 v0, v24, v22
	v_fma_f32 v222, -0.5, v0, v222
	v_sub_f32_e32 v0, v9, v27
	v_fmamk_f32 v226, v0, 0x3f5db3d7, v222
	v_fmac_f32_e32 v222, 0xbf5db3d7, v0
	v_add_f32_e32 v0, v223, v9
	v_add_f32_e32 v221, v0, v27
	;; [unrolled: 1-line block ×3, first 2 shown]
	v_fmac_f32_e32 v223, -0.5, v0
	v_sub_f32_e32 v0, v24, v22
	v_fmamk_f32 v227, v0, 0xbf5db3d7, v223
	v_fmac_f32_e32 v223, 0x3f5db3d7, v0
	v_add_f32_e32 v0, v216, v30
	v_add_f32_e32 v24, v0, v23
	v_add_f32_e32 v0, v30, v23
	v_fma_f32 v28, -0.5, v0, v216
	v_sub_f32_e32 v0, v11, v29
	v_fmamk_f32 v216, v0, 0x3f5db3d7, v28
	v_fmac_f32_e32 v28, 0xbf5db3d7, v0
	v_add_f32_e32 v0, v217, v11
	v_add_f32_e32 v25, v0, v29
	v_add_f32_e32 v0, v11, v29
	v_fma_f32 v29, -0.5, v0, v217
	;; [unrolled: 7-line block ×3, first 2 shown]
	v_sub_f32_e32 v0, v12, v4
	v_fmamk_f32 v2, v0, 0x3f5db3d7, v218
	v_fmac_f32_e32 v218, 0xbf5db3d7, v0
	v_add_f32_e32 v0, v219, v12
	v_add_f32_e32 v27, v0, v4
	v_add_f32_e32 v0, v12, v4
	v_fmac_f32_e32 v219, -0.5, v0
	v_sub_f32_e32 v0, v13, v252
	v_fmamk_f32 v3, v0, 0xbf5db3d7, v219
	v_fmac_f32_e32 v219, 0x3f5db3d7, v0
	v_add_f32_e32 v0, v212, v14
	v_add_f32_e32 v16, v0, v253
	v_add_f32_e32 v0, v14, v253
	v_fma_f32 v4, -0.5, v0, v212
	v_sub_f32_e32 v0, v21, v5
	v_fmamk_f32 v20, v0, 0x3f5db3d7, v4
	v_fmac_f32_e32 v4, 0xbf5db3d7, v0
	v_add_f32_e32 v0, v213, v21
	v_add_f32_e32 v17, v0, v5
	v_add_f32_e32 v0, v21, v5
	v_fma_f32 v5, -0.5, v0, v213
	;; [unrolled: 7-line block ×3, first 2 shown]
	v_sub_f32_e32 v0, v249, v10
	v_fmamk_f32 v252, v0, 0x3f5db3d7, v214
	v_fmac_f32_e32 v214, 0xbf5db3d7, v0
	v_add_f32_e32 v0, v215, v249
	v_add_f32_e32 v23, v0, v10
	;; [unrolled: 1-line block ×3, first 2 shown]
	v_add_nc_u32_e32 v249, 0x3400, v80
	v_fmac_f32_e32 v215, -0.5, v0
	v_sub_f32_e32 v0, v15, v254
	v_fmamk_f32 v253, v0, 0xbf5db3d7, v215
	v_fmac_f32_e32 v215, 0x3f5db3d7, v0
	v_add_f32_e32 v0, v208, v247
	v_add_f32_e32 v212, v0, v255
	;; [unrolled: 1-line block ×3, first 2 shown]
	v_fma_f32 v0, -0.5, v0, v208
	v_fmamk_f32 v10, v1, 0x3f5db3d7, v0
	v_fmac_f32_e32 v0, 0xbf5db3d7, v1
	v_add_f32_e32 v1, v209, v250
	v_add_f32_e32 v213, v1, v6
	;; [unrolled: 1-line block ×3, first 2 shown]
	v_sub_f32_e32 v6, v247, v255
	v_mov_b32_e32 v250, v224
	v_mov_b32_e32 v255, v245
	v_fma_f32 v1, -0.5, v1, v209
	v_fmamk_f32 v11, v6, 0xbf5db3d7, v1
	v_fmac_f32_e32 v1, 0x3f5db3d7, v6
	v_add_f32_e32 v6, v210, v248
	v_add_f32_e32 v12, v6, v33
	;; [unrolled: 1-line block ×3, first 2 shown]
	v_fma_f32 v210, -0.5, v6, v210
	v_sub_f32_e32 v6, v251, v7
	v_fmamk_f32 v14, v6, 0x3f5db3d7, v210
	v_fmac_f32_e32 v210, 0xbf5db3d7, v6
	v_add_f32_e32 v6, v211, v251
	v_add_f32_e32 v13, v6, v7
	;; [unrolled: 1-line block ×3, first 2 shown]
	v_mov_b32_e32 v251, v225
	v_fmac_f32_e32 v211, -0.5, v6
	v_sub_f32_e32 v6, v248, v33
	v_fmamk_f32 v15, v6, 0xbf5db3d7, v211
	v_fmac_f32_e32 v211, 0x3f5db3d7, v6
	v_add_nc_u32_e32 v6, 0x5800, v80
	ds_write2_b64 v6, v[18:19], v[228:229] offset0:19 offset1:154
	v_mov_b32_e32 v38, v6
	v_add_nc_u32_e32 v6, 0x6000, v80
	ds_write2_b64 v244, v[31:32], v[220:221] offset0:14 offset1:149
	ds_write2_b64 v249, v[226:227], v[216:217] offset0:91 offset1:226
	v_mov_b32_e32 v217, v82
	v_mov_b32_e32 v244, v34
	ds_write2_b64 v6, v[222:223], v[28:29] offset0:33 offset1:168
	ds_write2_b64 v82, v[24:25], v[26:27] offset0:28 offset1:163
	ds_write_b64 v80, v[218:219] offset:27000
	ds_write2_b64 v36, v[2:3], v[20:21] offset0:105 offset1:240
	ds_write2_b64 v245, v[16:17], v[22:23] offset0:42 offset1:177
	v_add_nc_u32_e32 v2, 0x4400, v80
	ds_write2_b64 v35, v[4:5], v[214:215] offset0:54 offset1:189
	v_mov_b32_e32 v254, v6
	v_add_co_u32 v22, vcc_lo, 0x7e90, v242
	ds_write2_b64 v2, v[252:253], v[10:11] offset0:119 offset1:254
	v_mov_b32_e32 v37, v2
	ds_write2_b64 v83, v[212:213], v[12:13] offset0:56 offset1:191
	ds_write_b64 v80, v[14:15] offset:20520
	ds_write2_b64 v34, v[0:1], v[210:211] offset0:68 offset1:203
	s_waitcnt lgkmcnt(0)
	s_barrier
	buffer_gl0_inv
	ds_read2_b64 v[0:3], v80 offset1:135
	s_clause 0x1
	buffer_load_dword v4, off, s[20:23], 0 offset:564
	buffer_load_dword v5, off, s[20:23], 0 offset:568
	v_add_co_ci_u32_e32 v23, vcc_lo, 0, v243, vcc_lo
	v_mov_b32_e32 v82, v35
	v_mov_b32_e32 v253, v8
	;; [unrolled: 1-line block ×3, first 2 shown]
	s_waitcnt vmcnt(0)
	global_load_dwordx2 v[4:5], v[4:5], off offset:1680
	s_waitcnt vmcnt(0) lgkmcnt(0)
	v_mul_f32_e32 v6, v1, v5
	v_mul_f32_e32 v7, v0, v5
	v_fma_f32 v6, v0, v4, -v6
	v_add_co_u32 v0, vcc_lo, 0x8800, v242
	v_fmac_f32_e32 v7, v1, v4
	v_add_co_ci_u32_e32 v1, vcc_lo, 0, v243, vcc_lo
	ds_write_b64 v80, v[6:7]
	global_load_dwordx2 v[4:5], v[0:1], off offset:824
	ds_read2_b64 v[32:35], v8 offset0:14 offset1:149
	ds_read2_b64 v[18:21], v245 offset0:42 offset1:177
	;; [unrolled: 1-line block ×8, first 2 shown]
	v_mov_b32_e32 v40, v82
	v_mov_b32_e32 v245, v41
	global_load_dwordx2 v[0:1], v[0:1], off offset:1904
	s_waitcnt vmcnt(1) lgkmcnt(7)
	v_mul_f32_e32 v6, v35, v5
	v_mul_f32_e32 v25, v34, v5
	v_fma_f32 v24, v34, v4, -v6
	v_add_co_u32 v34, vcc_lo, 0x9000, v242
	v_fmac_f32_e32 v25, v35, v4
	v_add_co_ci_u32_e32 v35, vcc_lo, 0, v243, vcc_lo
	v_add_co_u32 v30, vcc_lo, 0xa000, v242
	v_add_co_ci_u32_e32 v31, vcc_lo, 0, v243, vcc_lo
	global_load_dwordx2 v[4:5], v[34:35], off offset:2016
	s_waitcnt vmcnt(0) lgkmcnt(6)
	v_mul_f32_e32 v6, v19, v5
	v_mul_f32_e32 v233, v18, v5
	v_fma_f32 v232, v18, v4, -v6
	v_fmac_f32_e32 v233, v19, v4
	global_load_dwordx2 v[4:5], v[30:31], off offset:1160
	ds_read2_b64 v[16:19], v83 offset0:56 offset1:191
	s_waitcnt vmcnt(0) lgkmcnt(0)
	v_mul_f32_e32 v6, v19, v5
	v_mul_f32_e32 v214, v18, v5
	v_fma_f32 v213, v18, v4, -v6
	v_add_co_u32 v18, vcc_lo, 0xb000, v242
	v_fmac_f32_e32 v214, v19, v4
	v_add_co_ci_u32_e32 v19, vcc_lo, 0, v243, vcc_lo
	v_add_co_u32 v26, vcc_lo, 0xb800, v242
	v_add_co_ci_u32_e32 v27, vcc_lo, 0, v243, vcc_lo
	global_load_dwordx2 v[4:5], v[18:19], off offset:304
	v_add_co_u32 v236, vcc_lo, 0xc800, v242
	v_add_co_ci_u32_e32 v237, vcc_lo, 0, v243, vcc_lo
	s_waitcnt vmcnt(0)
	v_mul_f32_e32 v6, v210, v5
	v_fma_f32 v208, v209, v4, -v6
	v_mul_f32_e32 v209, v209, v5
	v_fmac_f32_e32 v209, v210, v4
	global_load_dwordx2 v[4:5], v[26:27], off offset:1496
	s_waitcnt vmcnt(0)
	v_mul_f32_e32 v6, v15, v5
	v_mul_f32_e32 v235, v14, v5
	v_fma_f32 v234, v14, v4, -v6
	v_fmac_f32_e32 v235, v15, v4
	global_load_dwordx2 v[4:5], v[236:237], off offset:640
	v_add_co_u32 v14, vcc_lo, 0xd000, v242
	v_add_co_ci_u32_e32 v15, vcc_lo, 0, v243, vcc_lo
	s_waitcnt vmcnt(0)
	v_mul_f32_e32 v6, v221, v5
	v_mul_f32_e32 v29, v220, v5
	v_fma_f32 v28, v220, v4, -v6
	v_fmac_f32_e32 v29, v221, v4
	global_load_dwordx2 v[4:5], v[14:15], off offset:1832
	s_waitcnt vmcnt(0)
	v_mul_f32_e32 v6, v11, v5
	v_mul_f32_e32 v239, v10, v5
	v_fma_f32 v238, v10, v4, -v6
	v_fmac_f32_e32 v239, v11, v4
	v_add_co_u32 v4, vcc_lo, 0xe000, v242
	v_add_co_ci_u32_e32 v5, vcc_lo, 0, v243, vcc_lo
	global_load_dwordx2 v[4:5], v[4:5], off offset:976
	s_waitcnt vmcnt(0)
	v_mul_f32_e32 v6, v225, v5
	v_mul_f32_e32 v11, v224, v5
	v_fma_f32 v10, v224, v4, -v6
	v_add_co_u32 v224, vcc_lo, 0xf000, v242
	v_fmac_f32_e32 v11, v225, v4
	v_add_co_ci_u32_e32 v225, vcc_lo, 0, v243, vcc_lo
	ds_read2_b64 v[4:7], v82 offset0:54 offset1:189
	v_mov_b32_e32 v82, v217
	global_load_dwordx2 v[215:216], v[224:225], off offset:120
	s_waitcnt vmcnt(0) lgkmcnt(0)
	v_mul_f32_e32 v210, v7, v216
	v_mul_f32_e32 v241, v6, v216
	v_fma_f32 v240, v6, v215, -v210
	v_fmac_f32_e32 v241, v7, v215
	global_load_dwordx2 v[6:7], v[22:23], off offset:1080
	s_waitcnt vmcnt(0)
	v_mul_f32_e32 v22, v3, v7
	v_mul_f32_e32 v248, v2, v7
	v_fma_f32 v247, v2, v6, -v22
	v_fmac_f32_e32 v248, v3, v6
	v_mul_f32_e32 v2, v229, v1
	v_mul_f32_e32 v3, v228, v1
	v_fma_f32 v2, v228, v0, -v2
	v_fmac_f32_e32 v3, v229, v0
	v_add_nc_u32_e32 v0, 0xc00, v80
	v_mov_b32_e32 v228, v42
	ds_write2_b64 v0, v[24:25], v[2:3] offset0:21 offset1:156
	v_add_co_u32 v0, vcc_lo, 0x9800, v242
	v_add_co_ci_u32_e32 v1, vcc_lo, 0, v243, vcc_lo
	v_add_co_u32 v220, vcc_lo, 0xa800, v242
	v_add_co_ci_u32_e32 v221, vcc_lo, 0, v243, vcc_lo
	global_load_dwordx2 v[0:1], v[0:1], off offset:1048
	ds_read2_b64 v[22:25], v43 offset0:70 offset1:205
	v_add_co_u32 v216, vcc_lo, 0xc000, v242
	v_add_co_ci_u32_e32 v217, vcc_lo, 0, v243, vcc_lo
	s_waitcnt vmcnt(0)
	v_mul_f32_e32 v2, v21, v1
	v_mul_f32_e32 v219, v20, v1
	v_fma_f32 v218, v20, v0, -v2
	v_fmac_f32_e32 v219, v21, v0
	global_load_dwordx2 v[0:1], v[220:221], off offset:192
	s_waitcnt vmcnt(0) lgkmcnt(0)
	v_mul_f32_e32 v2, v23, v1
	v_mul_f32_e32 v3, v22, v1
	v_fma_f32 v2, v22, v0, -v2
	v_fmac_f32_e32 v3, v23, v0
	v_add_nc_u32_e32 v0, 0x2400, v80
	ds_read2_b64 v[20:23], v42 offset0:112 offset1:247
	v_mov_b32_e32 v42, v252
	ds_write2_b64 v0, v[213:214], v[2:3] offset0:63 offset1:198
	global_load_dwordx2 v[0:1], v[18:19], off offset:1384
	s_waitcnt vmcnt(0)
	v_mul_f32_e32 v2, v212, v1
	v_mul_f32_e32 v215, v211, v1
	v_fma_f32 v214, v211, v0, -v2
	v_fmac_f32_e32 v215, v212, v0
	global_load_dwordx2 v[0:1], v[216:217], off offset:528
	v_add_co_u32 v212, vcc_lo, 0xd800, v242
	v_add_co_ci_u32_e32 v213, vcc_lo, 0, v243, vcc_lo
	s_waitcnt vmcnt(0) lgkmcnt(1)
	v_mul_f32_e32 v2, v21, v1
	v_mul_f32_e32 v3, v20, v1
	v_fma_f32 v2, v20, v0, -v2
	v_fmac_f32_e32 v3, v21, v0
	global_load_dwordx2 v[0:1], v[236:237], off offset:1720
	ds_read2_b64 v[18:21], v41 offset0:26 offset1:161
	v_mov_b32_e32 v41, v246
	ds_write2_b64 v36, v[234:235], v[2:3] offset0:105 offset1:240
	v_mov_b32_e32 v36, v82
	s_waitcnt vmcnt(0)
	v_mul_f32_e32 v2, v223, v1
	v_mul_f32_e32 v211, v222, v1
	v_fma_f32 v210, v222, v0, -v2
	v_fmac_f32_e32 v211, v223, v0
	s_clause 0x1
	global_load_dwordx2 v[0:1], v[212:213], off offset:864
	global_load_dwordx2 v[222:223], v[224:225], off offset:1200
	s_waitcnt vmcnt(1) lgkmcnt(1)
	v_mul_f32_e32 v2, v19, v1
	v_mul_f32_e32 v3, v18, v1
	v_fma_f32 v2, v18, v0, -v2
	v_add_co_u32 v18, vcc_lo, 0xe800, v242
	v_fmac_f32_e32 v3, v19, v0
	v_add_co_ci_u32_e32 v19, vcc_lo, 0, v243, vcc_lo
	ds_write2_b64 v38, v[238:239], v[2:3] offset0:19 offset1:154
	global_load_dwordx2 v[0:1], v[18:19], off offset:8
	v_mov_b32_e32 v38, v43
	s_waitcnt vmcnt(0)
	v_mul_f32_e32 v2, v227, v1
	v_mul_f32_e32 v7, v226, v1
	v_fma_f32 v6, v226, v0, -v2
	v_fmac_f32_e32 v7, v227, v0
	ds_read2_b64 v[0:3], v244 offset0:68 offset1:203
	s_waitcnt lgkmcnt(0)
	v_mul_f32_e32 v224, v1, v223
	v_mul_f32_e32 v225, v0, v223
	v_fma_f32 v224, v0, v222, -v224
	v_fmac_f32_e32 v225, v1, v222
	v_add_nc_u32_e32 v0, 0x7000, v80
	ds_write2_b64 v0, v[240:241], v[224:225] offset0:61 offset1:196
	v_add_co_u32 v0, vcc_lo, 0x8000, v242
	v_add_co_ci_u32_e32 v1, vcc_lo, 0, v243, vcc_lo
	global_load_dwordx2 v[0:1], v[0:1], off offset:1792
	s_waitcnt vmcnt(0)
	v_mul_f32_e32 v222, v33, v1
	v_mul_f32_e32 v223, v32, v1
	v_fma_f32 v222, v32, v0, -v222
	v_fmac_f32_e32 v223, v33, v0
	v_add_nc_u32_e32 v0, 0x400, v80
	ds_write2_b64 v0, v[247:248], v[222:223] offset0:7 offset1:142
	global_load_dwordx2 v[0:1], v[34:35], off offset:936
	s_waitcnt vmcnt(0)
	v_mul_f32_e32 v32, v231, v1
	v_mul_f32_e32 v33, v230, v1
	v_fma_f32 v32, v230, v0, -v32
	v_fmac_f32_e32 v33, v231, v0
	v_add_nc_u32_e32 v0, 0x1400, v80
	ds_write2_b64 v0, v[32:33], v[232:233] offset0:35 offset1:170
	;; [unrolled: 8-line block ×3, first 2 shown]
	global_load_dwordx2 v[0:1], v[220:221], off offset:1272
	s_waitcnt vmcnt(0)
	v_mul_f32_e32 v16, v25, v1
	v_mul_f32_e32 v17, v24, v1
	v_fma_f32 v16, v24, v0, -v16
	v_fmac_f32_e32 v17, v25, v0
	global_load_dwordx2 v[0:1], v[26:27], off offset:416
	ds_write2_b64 v81, v[16:17], v[208:209] offset0:77 offset1:212
	v_mov_b32_e32 v81, v228
	s_waitcnt vmcnt(0)
	v_mul_f32_e32 v16, v13, v1
	v_mul_f32_e32 v17, v12, v1
	v_fma_f32 v16, v12, v0, -v16
	v_fmac_f32_e32 v17, v13, v0
	global_load_dwordx2 v[0:1], v[216:217], off offset:1608
	ds_write2_b64 v249, v[214:215], v[16:17] offset0:91 offset1:226
	s_waitcnt vmcnt(0)
	v_mul_f32_e32 v12, v23, v1
	v_mul_f32_e32 v13, v22, v1
	v_fma_f32 v12, v22, v0, -v12
	v_fmac_f32_e32 v13, v23, v0
	global_load_dwordx2 v[0:1], v[14:15], off offset:752
	ds_write2_b64 v37, v[12:13], v[28:29] offset0:119 offset1:254
	v_mov_b32_e32 v37, v245
	s_waitcnt vmcnt(0)
	v_mul_f32_e32 v12, v9, v1
	v_mul_f32_e32 v13, v8, v1
	v_fma_f32 v12, v8, v0, -v12
	v_fmac_f32_e32 v13, v9, v0
	v_add_nc_u32_e32 v0, 0x5000, v80
	ds_write2_b64 v0, v[210:211], v[12:13] offset0:5 offset1:140
	global_load_dwordx2 v[0:1], v[212:213], off offset:1944
	s_waitcnt vmcnt(0)
	v_mul_f32_e32 v8, v21, v1
	v_mul_f32_e32 v9, v20, v1
	v_fma_f32 v8, v20, v0, -v8
	v_fmac_f32_e32 v9, v21, v0
	global_load_dwordx2 v[0:1], v[18:19], off offset:1088
	ds_write2_b64 v254, v[8:9], v[10:11] offset0:33 offset1:168
	s_waitcnt vmcnt(0)
	v_mul_f32_e32 v8, v5, v1
	v_mul_f32_e32 v9, v4, v1
	v_fma_f32 v8, v4, v0, -v8
	v_fmac_f32_e32 v9, v5, v0
	v_add_nc_u32_e32 v0, 0x6800, v80
	ds_write2_b64 v0, v[6:7], v[8:9] offset0:47 offset1:182
	v_add_co_u32 v0, vcc_lo, 0xf800, v242
	v_add_co_ci_u32_e32 v1, vcc_lo, 0, v243, vcc_lo
	global_load_dwordx2 v[0:1], v[0:1], off offset:232
	s_waitcnt vmcnt(0)
	v_mul_f32_e32 v4, v3, v1
	v_mul_f32_e32 v5, v2, v1
	v_fma_f32 v4, v2, v0, -v4
	v_fmac_f32_e32 v5, v3, v0
	ds_write_b64 v80, v[4:5] offset:31320
	s_waitcnt lgkmcnt(0)
	s_barrier
	buffer_gl0_inv
	ds_read2_b64 v[4:7], v80 offset1:135
	ds_read2_b64 v[208:211], v253 offset0:14 offset1:149
	ds_read2_b64 v[236:239], v255 offset0:42 offset1:177
	;; [unrolled: 1-line block ×13, first 2 shown]
	v_mov_b32_e32 v43, v244
	ds_read2_b64 v[224:227], v245 offset0:26 offset1:161
	v_mov_b32_e32 v39, v250
	s_waitcnt lgkmcnt(0)
	s_barrier
	buffer_gl0_inv
	v_add_nc_u32_e32 v82, 0x5400, v80
	v_add_f32_e32 v16, v4, v236
	v_sub_f32_e32 v23, v236, v240
	v_sub_f32_e32 v29, v241, v247
	;; [unrolled: 1-line block ×3, first 2 shown]
	v_add_f32_e32 v16, v16, v240
	v_sub_f32_e32 v30, v0, v246
	v_sub_f32_e32 v31, v246, v0
	;; [unrolled: 1-line block ×4, first 2 shown]
	v_add_f32_e32 v16, v16, v246
	v_add_f32_e32 v23, v23, v30
	v_sub_f32_e32 v30, v240, v236
	v_sub_f32_e32 v34, v20, v14
	v_add_f32_e32 v32, v32, v33
	v_add_f32_e32 v17, v16, v0
	;; [unrolled: 1-line block ×4, first 2 shown]
	v_sub_f32_e32 v33, v15, v11
	v_sub_f32_e32 v35, v234, v10
	;; [unrolled: 1-line block ×3, first 2 shown]
	v_fma_f32 v16, -0.5, v16, v4
	v_add_f32_e32 v34, v34, v35
	v_fmamk_f32 v22, v28, 0xbf737871, v16
	v_fmac_f32_e32 v16, 0x3f737871, v28
	v_fmac_f32_e32 v22, 0xbf167918, v29
	;; [unrolled: 1-line block ×5, first 2 shown]
	v_add_f32_e32 v23, v236, v0
	v_fma_f32 v4, -0.5, v23, v4
	v_fmamk_f32 v23, v29, 0x3f737871, v4
	v_fmac_f32_e32 v4, 0xbf737871, v29
	v_fmac_f32_e32 v23, 0xbf167918, v28
	;; [unrolled: 1-line block ×3, first 2 shown]
	v_add_f32_e32 v28, v5, v237
	v_fmac_f32_e32 v23, 0x3e9e377a, v30
	v_fmac_f32_e32 v4, 0x3e9e377a, v30
	v_add_f32_e32 v28, v28, v241
	v_sub_f32_e32 v30, v240, v246
	v_add_f32_e32 v28, v28, v247
	v_add_f32_e32 v29, v28, v1
	;; [unrolled: 1-line block ×3, first 2 shown]
	v_fma_f32 v31, -0.5, v28, v5
	v_sub_f32_e32 v28, v236, v0
	v_fmamk_f32 v0, v28, 0x3f737871, v31
	v_fmac_f32_e32 v31, 0xbf737871, v28
	v_fmac_f32_e32 v0, 0x3f167918, v30
	;; [unrolled: 1-line block ×5, first 2 shown]
	v_add_f32_e32 v32, v237, v1
	v_sub_f32_e32 v1, v247, v1
	v_fma_f32 v5, -0.5, v32, v5
	v_sub_f32_e32 v32, v241, v237
	v_fmamk_f32 v236, v30, 0xbf737871, v5
	v_fmac_f32_e32 v5, 0x3f737871, v30
	v_sub_f32_e32 v30, v21, v235
	v_add_f32_e32 v1, v32, v1
	v_fmac_f32_e32 v236, 0x3f167918, v28
	v_fmac_f32_e32 v5, 0xbf167918, v28
	v_add_f32_e32 v28, v14, v10
	v_fmac_f32_e32 v236, 0x3e9e377a, v1
	v_fmac_f32_e32 v5, 0x3e9e377a, v1
	v_fma_f32 v28, -0.5, v28, v210
	v_add_f32_e32 v1, v210, v20
	v_fmamk_f32 v32, v30, 0xbf737871, v28
	v_fmac_f32_e32 v28, 0x3f737871, v30
	v_add_f32_e32 v1, v1, v14
	v_fmac_f32_e32 v32, 0xbf167918, v33
	v_fmac_f32_e32 v28, 0x3f167918, v33
	v_add_f32_e32 v1, v1, v10
	v_sub_f32_e32 v10, v14, v10
	v_fmac_f32_e32 v32, 0x3e9e377a, v34
	v_fmac_f32_e32 v28, 0x3e9e377a, v34
	v_add_f32_e32 v34, v20, v234
	v_add_f32_e32 v1, v1, v234
	v_fma_f32 v34, -0.5, v34, v210
	v_sub_f32_e32 v210, v14, v20
	v_sub_f32_e32 v20, v20, v234
	;; [unrolled: 1-line block ×4, first 2 shown]
	v_fmamk_f32 v35, v33, 0x3f737871, v34
	v_fmac_f32_e32 v34, 0xbf737871, v33
	v_add_f32_e32 v210, v210, v228
	v_sub_f32_e32 v228, v235, v11
	v_fmac_f32_e32 v35, 0xbf167918, v30
	v_fmac_f32_e32 v34, 0x3f167918, v30
	v_add_f32_e32 v30, v211, v21
	v_add_f32_e32 v14, v14, v228
	;; [unrolled: 1-line block ×3, first 2 shown]
	v_fmac_f32_e32 v35, 0x3e9e377a, v210
	v_fmac_f32_e32 v34, 0x3e9e377a, v210
	v_add_f32_e32 v30, v30, v15
	v_add_f32_e32 v1, v242, v248
	v_sub_f32_e32 v17, v3, v249
	v_add_f32_e32 v30, v30, v11
	v_fma_f32 v1, -0.5, v1, v6
	v_add_f32_e32 v33, v30, v235
	v_add_f32_e32 v30, v15, v11
	v_sub_f32_e32 v15, v15, v21
	v_sub_f32_e32 v11, v11, v235
	v_add_f32_e32 v229, v29, v33
	v_fma_f32 v30, -0.5, v30, v211
	v_sub_f32_e32 v247, v29, v33
	v_add_f32_e32 v11, v15, v11
	v_sub_f32_e32 v33, v216, v220
	v_fmamk_f32 v210, v20, 0x3f737871, v30
	v_fmac_f32_e32 v30, 0xbf737871, v20
	v_fmac_f32_e32 v210, 0x3f167918, v10
	;; [unrolled: 1-line block ×5, first 2 shown]
	v_add_f32_e32 v14, v21, v235
	v_mul_f32_e32 v21, 0xbf167918, v30
	v_fma_f32 v14, -0.5, v14, v211
	v_fmac_f32_e32 v21, 0xbf4f1bbd, v28
	v_fmamk_f32 v211, v10, 0xbf737871, v14
	v_fmac_f32_e32 v14, 0x3f737871, v10
	v_mul_f32_e32 v10, 0xbf167918, v210
	v_add_f32_e32 v244, v16, v21
	v_fmac_f32_e32 v211, 0x3f167918, v20
	v_fmac_f32_e32 v14, 0xbf167918, v20
	;; [unrolled: 1-line block ×3, first 2 shown]
	v_mul_f32_e32 v32, 0x3f167918, v32
	v_fmac_f32_e32 v211, 0x3e9e377a, v11
	v_fmac_f32_e32 v14, 0x3e9e377a, v11
	v_add_f32_e32 v230, v22, v10
	v_sub_f32_e32 v20, v22, v10
	v_sub_f32_e32 v10, v243, v249
	v_mul_f32_e32 v11, 0xbf737871, v211
	v_mul_f32_e32 v15, 0xbf737871, v14
	v_mul_f32_e32 v14, 0xbe9e377a, v14
	v_fmac_f32_e32 v32, 0x3f4f1bbd, v210
	v_mul_f32_e32 v210, 0x3e9e377a, v211
	v_fmac_f32_e32 v11, 0x3e9e377a, v35
	v_fmac_f32_e32 v15, 0xbe9e377a, v34
	;; [unrolled: 1-line block ×3, first 2 shown]
	v_mul_f32_e32 v34, 0xbf4f1bbd, v30
	v_add_f32_e32 v231, v0, v32
	v_add_f32_e32 v252, v23, v11
	v_add_f32_e32 v254, v4, v15
	v_add_f32_e32 v255, v5, v14
	v_fmac_f32_e32 v34, 0x3f167918, v28
	v_sub_f32_e32 v28, v4, v15
	v_sub_f32_e32 v4, v239, v3
	;; [unrolled: 1-line block ×6, first 2 shown]
	v_fmamk_f32 v5, v4, 0xbf737871, v1
	v_fmac_f32_e32 v1, 0x3f737871, v4
	v_sub_f32_e32 v30, v16, v21
	v_sub_f32_e32 v21, v0, v32
	v_add_f32_e32 v11, v11, v14
	v_fmac_f32_e32 v5, 0xbf167918, v10
	v_fmac_f32_e32 v1, 0x3f167918, v10
	v_add_f32_e32 v0, v6, v238
	v_sub_f32_e32 v14, v242, v238
	v_sub_f32_e32 v15, v248, v2
	v_fmac_f32_e32 v5, 0x3e9e377a, v11
	v_fmac_f32_e32 v1, 0x3e9e377a, v11
	v_add_f32_e32 v11, v238, v2
	v_add_f32_e32 v0, v0, v242
	v_add_f32_e32 v14, v14, v15
	v_sub_f32_e32 v16, v239, v243
	v_add_f32_e32 v245, v31, v34
	v_fma_f32 v6, -0.5, v11, v6
	v_add_f32_e32 v0, v0, v248
	v_sub_f32_e32 v31, v31, v34
	v_add_f32_e32 v16, v16, v17
	v_sub_f32_e32 v32, v221, v225
	v_fmamk_f32 v11, v10, 0x3f737871, v6
	v_fmac_f32_e32 v6, 0xbf737871, v10
	v_add_f32_e32 v10, v243, v249
	v_add_f32_e32 v0, v0, v2
	v_sub_f32_e32 v2, v238, v2
	v_fmac_f32_e32 v11, 0xbf167918, v4
	v_fmac_f32_e32 v6, 0x3f167918, v4
	v_fma_f32 v10, -0.5, v10, v7
	v_add_f32_e32 v4, v7, v239
	v_sub_f32_e32 v34, v24, v224
	v_fmac_f32_e32 v11, 0x3e9e377a, v14
	v_fmac_f32_e32 v6, 0x3e9e377a, v14
	v_fmamk_f32 v15, v2, 0x3f737871, v10
	v_sub_f32_e32 v14, v242, v248
	v_fmac_f32_e32 v10, 0xbf737871, v2
	v_add_f32_e32 v4, v4, v243
	v_add_f32_e32 v33, v33, v34
	v_fmac_f32_e32 v210, 0x3f737871, v35
	v_fmac_f32_e32 v15, 0x3f167918, v14
	;; [unrolled: 1-line block ×3, first 2 shown]
	v_add_f32_e32 v4, v4, v249
	v_sub_f32_e32 v35, v220, v216
	v_add_f32_e32 v253, v236, v210
	v_fmac_f32_e32 v15, 0x3e9e377a, v16
	v_fmac_f32_e32 v10, 0x3e9e377a, v16
	v_add_f32_e32 v16, v239, v3
	v_add_f32_e32 v4, v4, v3
	v_sub_f32_e32 v3, v249, v3
	v_sub_f32_e32 v23, v236, v210
	;; [unrolled: 1-line block ×3, first 2 shown]
	v_fmac_f32_e32 v7, -0.5, v16
	v_sub_f32_e32 v16, v243, v239
	v_sub_f32_e32 v211, v217, v221
	v_add_f32_e32 v35, v35, v210
	v_fmamk_f32 v17, v14, 0xbf737871, v7
	v_fmac_f32_e32 v7, 0x3f737871, v14
	v_add_f32_e32 v3, v16, v3
	v_sub_f32_e32 v14, v217, v25
	v_sub_f32_e32 v210, v220, v224
	v_fmac_f32_e32 v17, 0x3f167918, v2
	v_fmac_f32_e32 v7, 0xbf167918, v2
	v_add_f32_e32 v2, v212, v216
	v_fmac_f32_e32 v17, 0x3e9e377a, v3
	v_fmac_f32_e32 v7, 0x3e9e377a, v3
	v_add_f32_e32 v3, v220, v224
	v_add_f32_e32 v2, v2, v220
	v_fma_f32 v3, -0.5, v3, v212
	v_add_f32_e32 v2, v2, v224
	v_fmamk_f32 v16, v14, 0xbf737871, v3
	v_fmac_f32_e32 v3, 0x3f737871, v14
	v_add_f32_e32 v2, v2, v24
	v_fmac_f32_e32 v16, 0xbf167918, v32
	v_fmac_f32_e32 v3, 0x3f167918, v32
	v_add_f32_e32 v248, v0, v2
	v_sub_f32_e32 v238, v0, v2
	v_fmac_f32_e32 v16, 0x3e9e377a, v33
	v_fmac_f32_e32 v3, 0x3e9e377a, v33
	v_add_f32_e32 v33, v216, v24
	v_sub_f32_e32 v24, v216, v24
	v_mul_f32_e32 v216, 0x3f167918, v16
	v_fma_f32 v33, -0.5, v33, v212
	v_sub_f32_e32 v212, v25, v225
	v_fmamk_f32 v34, v32, 0x3f737871, v33
	v_fmac_f32_e32 v33, 0xbf737871, v32
	v_add_f32_e32 v211, v211, v212
	v_fmac_f32_e32 v34, 0xbf167918, v14
	v_fmac_f32_e32 v33, 0x3f167918, v14
	v_add_f32_e32 v14, v213, v217
	v_fmac_f32_e32 v34, 0x3e9e377a, v35
	v_fmac_f32_e32 v33, 0x3e9e377a, v35
	v_add_f32_e32 v14, v14, v221
	v_add_f32_e32 v14, v14, v225
	;; [unrolled: 1-line block ×5, first 2 shown]
	v_fma_f32 v14, -0.5, v14, v213
	v_sub_f32_e32 v239, v4, v32
	v_add_f32_e32 v4, v208, v18
	v_sub_f32_e32 v32, v8, v232
	v_fmamk_f32 v35, v24, 0x3f737871, v14
	v_fmac_f32_e32 v14, 0xbf737871, v24
	v_add_f32_e32 v4, v4, v12
	v_fmac_f32_e32 v35, 0x3f167918, v210
	v_fmac_f32_e32 v14, 0xbf167918, v210
	v_add_f32_e32 v4, v4, v8
	v_fmac_f32_e32 v35, 0x3e9e377a, v211
	v_fmac_f32_e32 v14, 0x3e9e377a, v211
	v_add_f32_e32 v211, v217, v25
	v_sub_f32_e32 v25, v225, v25
	v_add_f32_e32 v4, v4, v232
	v_fmac_f32_e32 v216, 0x3f4f1bbd, v35
	v_fma_f32 v211, -0.5, v211, v213
	v_sub_f32_e32 v213, v221, v217
	v_add_f32_e32 v251, v15, v216
	v_sub_f32_e32 v15, v15, v216
	v_fmamk_f32 v212, v210, 0xbf737871, v211
	v_add_f32_e32 v25, v213, v25
	v_fmac_f32_e32 v211, 0x3f737871, v210
	v_mul_f32_e32 v213, 0xbf167918, v14
	v_fmac_f32_e32 v212, 0x3f167918, v24
	v_fmac_f32_e32 v211, 0xbf167918, v24
	v_mul_f32_e32 v24, 0xbf167918, v35
	v_fmac_f32_e32 v213, 0xbf4f1bbd, v3
	v_fmac_f32_e32 v212, 0x3e9e377a, v25
	;; [unrolled: 1-line block ×4, first 2 shown]
	v_add_f32_e32 v236, v1, v213
	v_mul_f32_e32 v25, 0xbf737871, v212
	v_mul_f32_e32 v35, 0x3e9e377a, v212
	;; [unrolled: 1-line block ×3, first 2 shown]
	v_add_f32_e32 v250, v5, v24
	v_sub_f32_e32 v2, v1, v213
	v_fmac_f32_e32 v25, 0x3e9e377a, v34
	v_fmac_f32_e32 v35, 0x3f737871, v34
	v_mul_f32_e32 v34, 0xbe9e377a, v211
	v_fmac_f32_e32 v210, 0xbe9e377a, v33
	v_add_f32_e32 v240, v11, v25
	v_sub_f32_e32 v16, v11, v25
	v_fmac_f32_e32 v34, 0x3f737871, v33
	v_mul_f32_e32 v33, 0xbf4f1bbd, v14
	v_sub_f32_e32 v14, v5, v24
	v_add_f32_e32 v5, v12, v8
	v_add_f32_e32 v242, v6, v210
	v_sub_f32_e32 v0, v6, v210
	v_fmac_f32_e32 v33, 0x3f167918, v3
	v_sub_f32_e32 v6, v19, v233
	v_fma_f32 v5, -0.5, v5, v208
	v_add_f32_e32 v243, v7, v34
	v_sub_f32_e32 v1, v7, v34
	v_add_f32_e32 v237, v10, v33
	v_sub_f32_e32 v3, v10, v33
	v_fmamk_f32 v7, v6, 0xbf737871, v5
	v_sub_f32_e32 v10, v13, v9
	v_sub_f32_e32 v11, v18, v12
	;; [unrolled: 1-line block ×3, first 2 shown]
	v_fmac_f32_e32 v5, 0x3f737871, v6
	v_sub_f32_e32 v25, v12, v18
	v_fmac_f32_e32 v7, 0xbf167918, v10
	v_sub_f32_e32 v8, v12, v8
	v_add_f32_e32 v11, v11, v24
	v_fmac_f32_e32 v5, 0x3f167918, v10
	v_add_f32_e32 v25, v25, v32
	v_sub_f32_e32 v12, v19, v13
	v_sub_f32_e32 v32, v233, v9
	v_fmac_f32_e32 v7, 0x3e9e377a, v11
	v_fmac_f32_e32 v5, 0x3e9e377a, v11
	v_add_f32_e32 v11, v18, v232
	v_sub_f32_e32 v18, v18, v232
	v_add_f32_e32 v12, v12, v32
	v_sub_f32_e32 v32, v218, v222
	v_sub_f32_e32 v33, v26, v226
	v_fma_f32 v11, -0.5, v11, v208
	v_add_f32_e32 v241, v17, v35
	v_sub_f32_e32 v17, v17, v35
	v_sub_f32_e32 v34, v222, v218
	v_add_f32_e32 v32, v32, v33
	v_fmamk_f32 v24, v10, 0x3f737871, v11
	v_fmac_f32_e32 v11, 0xbf737871, v10
	v_add_f32_e32 v10, v13, v9
	v_sub_f32_e32 v35, v226, v26
	v_sub_f32_e32 v208, v219, v223
	v_fmac_f32_e32 v24, 0xbf167918, v6
	v_fmac_f32_e32 v11, 0x3f167918, v6
	v_fma_f32 v10, -0.5, v10, v209
	v_add_f32_e32 v6, v209, v19
	v_add_f32_e32 v34, v34, v35
	v_fmac_f32_e32 v24, 0x3e9e377a, v25
	v_fmac_f32_e32 v11, 0x3e9e377a, v25
	v_fmamk_f32 v25, v18, 0x3f737871, v10
	v_fmac_f32_e32 v10, 0xbf737871, v18
	v_add_f32_e32 v6, v6, v13
	v_sub_f32_e32 v13, v13, v19
	v_sub_f32_e32 v35, v222, v226
	v_fmac_f32_e32 v25, 0x3f167918, v8
	v_fmac_f32_e32 v10, 0xbf167918, v8
	v_add_f32_e32 v6, v6, v9
	v_sub_f32_e32 v9, v9, v233
	v_sub_f32_e32 v210, v27, v227
	v_fmac_f32_e32 v25, 0x3e9e377a, v12
	v_fmac_f32_e32 v10, 0x3e9e377a, v12
	v_add_f32_e32 v12, v19, v233
	v_add_f32_e32 v9, v13, v9
	v_sub_f32_e32 v13, v219, v27
	v_sub_f32_e32 v19, v223, v227
	v_add_f32_e32 v208, v208, v210
	v_fmac_f32_e32 v209, -0.5, v12
	v_sub_f32_e32 v210, v223, v219
	v_add_f32_e32 v6, v6, v233
	v_fmamk_f32 v12, v8, 0xbf737871, v209
	v_fmac_f32_e32 v209, 0x3f737871, v8
	v_add_f32_e32 v8, v214, v218
	v_fmac_f32_e32 v12, 0x3f167918, v18
	v_fmac_f32_e32 v209, 0xbf167918, v18
	v_add_f32_e32 v8, v8, v222
	v_fmac_f32_e32 v12, 0x3e9e377a, v9
	v_fmac_f32_e32 v209, 0x3e9e377a, v9
	v_add_f32_e32 v9, v222, v226
	v_add_f32_e32 v8, v8, v226
	v_fma_f32 v9, -0.5, v9, v214
	v_add_f32_e32 v8, v8, v26
	v_fmamk_f32 v18, v13, 0xbf737871, v9
	v_fmac_f32_e32 v9, 0x3f737871, v13
	v_add_f32_e32 v224, v4, v8
	v_fmac_f32_e32 v18, 0xbf167918, v19
	v_fmac_f32_e32 v9, 0x3f167918, v19
	;; [unrolled: 1-line block ×4, first 2 shown]
	v_add_f32_e32 v32, v218, v26
	v_sub_f32_e32 v26, v218, v26
	v_sub_f32_e32 v218, v4, v8
	buffer_load_dword v4, off, s[20:23], 0 offset:524 ; 4-byte Folded Reload
	s_waitcnt vmcnt(0)
	ds_write_b128 v4, v[228:231]
	ds_write_b128 v4, v[252:255] offset:16
	ds_write_b128 v4, v[244:247] offset:32
	;; [unrolled: 1-line block ×4, first 2 shown]
	buffer_load_dword v4, off, s[20:23], 0 offset:400 ; 4-byte Folded Reload
	s_waitcnt vmcnt(0)
	ds_write_b128 v4, v[248:251]
	ds_write_b128 v4, v[240:243] offset:16
	ds_write_b128 v4, v[236:239] offset:32
	;; [unrolled: 1-line block ×4, first 2 shown]
	buffer_load_dword v0, off, s[20:23], 0 offset:252 ; 4-byte Folded Reload
	v_fma_f32 v32, -0.5, v32, v214
	v_add_nc_u32_e32 v251, 0x1800, v80
	v_add_nc_u32_e32 v250, 0x800, v80
	;; [unrolled: 1-line block ×3, first 2 shown]
	v_mov_b32_e32 v252, v39
	v_fmamk_f32 v33, v19, 0x3f737871, v32
	v_fmac_f32_e32 v32, 0xbf737871, v19
	v_add_f32_e32 v19, v223, v227
	v_mov_b32_e32 v254, v40
	v_mov_b32_e32 v255, v41
	v_fmac_f32_e32 v33, 0xbf167918, v13
	v_fmac_f32_e32 v32, 0x3f167918, v13
	v_fma_f32 v19, -0.5, v19, v215
	v_add_f32_e32 v13, v215, v219
	v_fmac_f32_e32 v33, 0x3e9e377a, v34
	v_fmac_f32_e32 v32, 0x3e9e377a, v34
	v_fmamk_f32 v34, v26, 0x3f737871, v19
	v_fmac_f32_e32 v19, 0xbf737871, v26
	v_add_f32_e32 v13, v13, v223
	v_fmac_f32_e32 v34, 0x3f167918, v35
	v_fmac_f32_e32 v19, 0xbf167918, v35
	v_add_f32_e32 v13, v13, v227
	v_fmac_f32_e32 v34, 0x3e9e377a, v208
	v_fmac_f32_e32 v19, 0x3e9e377a, v208
	v_add_f32_e32 v208, v219, v27
	v_add_f32_e32 v13, v13, v27
	v_sub_f32_e32 v27, v227, v27
	v_fmac_f32_e32 v215, -0.5, v208
	v_add_f32_e32 v225, v6, v13
	v_add_f32_e32 v27, v210, v27
	v_mul_f32_e32 v210, 0xbf167918, v19
	v_mul_f32_e32 v19, 0xbf4f1bbd, v19
	v_fmamk_f32 v208, v35, 0xbf737871, v215
	v_fmac_f32_e32 v215, 0x3f737871, v35
	v_sub_f32_e32 v219, v6, v13
	v_fmac_f32_e32 v210, 0xbf4f1bbd, v9
	v_fmac_f32_e32 v19, 0x3f167918, v9
	;; [unrolled: 1-line block ×4, first 2 shown]
	v_mul_f32_e32 v26, 0xbf167918, v34
	v_add_f32_e32 v216, v5, v210
	v_add_f32_e32 v217, v10, v19
	v_fmac_f32_e32 v208, 0x3e9e377a, v27
	v_fmac_f32_e32 v215, 0x3e9e377a, v27
	v_fmac_f32_e32 v26, 0x3f4f1bbd, v18
	v_mul_f32_e32 v18, 0x3f167918, v18
	v_sub_f32_e32 v210, v5, v210
	v_mul_f32_e32 v27, 0xbf737871, v208
	v_mul_f32_e32 v35, 0xbf737871, v215
	v_add_f32_e32 v226, v7, v26
	v_fmac_f32_e32 v18, 0x3f4f1bbd, v34
	v_mul_f32_e32 v34, 0x3e9e377a, v208
	v_fmac_f32_e32 v27, 0x3e9e377a, v33
	v_fmac_f32_e32 v35, 0xbe9e377a, v32
	v_sub_f32_e32 v212, v7, v26
	v_add_f32_e32 v227, v25, v18
	v_fmac_f32_e32 v34, 0x3f737871, v33
	v_mul_f32_e32 v33, 0xbe9e377a, v215
	v_add_f32_e32 v220, v24, v27
	v_add_f32_e32 v222, v11, v35
	v_sub_f32_e32 v214, v24, v27
	v_add_f32_e32 v221, v12, v34
	v_fmac_f32_e32 v33, 0x3f737871, v32
	v_sub_f32_e32 v213, v25, v18
	v_sub_f32_e32 v215, v12, v34
	;; [unrolled: 1-line block ×4, first 2 shown]
	v_add_f32_e32 v223, v209, v33
	v_sub_f32_e32 v209, v209, v33
	s_waitcnt vmcnt(0)
	ds_write_b128 v0, v[224:227]
	ds_write_b128 v0, v[220:223] offset:16
	ds_write_b128 v0, v[216:219] offset:32
	;; [unrolled: 1-line block ×4, first 2 shown]
	s_waitcnt lgkmcnt(0)
	s_barrier
	buffer_gl0_inv
	ds_read2_b64 v[216:219], v80 offset1:135
	ds_read2_b64 v[0:3], v251 offset0:42 offset1:177
	ds_read2_b64 v[4:7], v41 offset0:84 offset1:219
	;; [unrolled: 1-line block ×14, first 2 shown]
	s_clause 0x3
	buffer_load_dword v233, off, s[20:23], 0 offset:272
	buffer_load_dword v234, off, s[20:23], 0 offset:276
	;; [unrolled: 1-line block ×4, first 2 shown]
	s_waitcnt vmcnt(2) lgkmcnt(13)
	v_mul_f32_e32 v232, v234, v1
	v_fmac_f32_e32 v232, v233, v0
	v_mul_f32_e32 v0, v234, v0
	v_fma_f32 v1, v233, v1, -v0
	s_waitcnt vmcnt(0) lgkmcnt(12)
	v_mul_f32_e32 v233, v236, v5
	v_mul_f32_e32 v0, v236, v4
	v_fmac_f32_e32 v233, v235, v4
	v_fma_f32 v4, v235, v5, -v0
	s_clause 0x7
	buffer_load_dword v234, off, s[20:23], 0 offset:256
	buffer_load_dword v235, off, s[20:23], 0 offset:260
	;; [unrolled: 1-line block ×8, first 2 shown]
	s_waitcnt vmcnt(6) lgkmcnt(11)
	v_mul_f32_e32 v5, v235, v9
	v_mul_f32_e32 v0, v235, v8
	v_fmac_f32_e32 v5, v234, v8
	v_fma_f32 v8, v234, v9, -v0
	s_waitcnt vmcnt(4) lgkmcnt(10)
	v_mul_f32_e32 v9, v237, v13
	v_mul_f32_e32 v0, v237, v12
	v_fmac_f32_e32 v9, v236, v12
	v_fma_f32 v12, v236, v13, -v0
	s_waitcnt vmcnt(2)
	v_mul_f32_e32 v13, v37, v3
	v_mul_f32_e32 v0, v37, v2
	v_fmac_f32_e32 v13, v36, v2
	v_fma_f32 v2, v36, v3, -v0
	s_waitcnt vmcnt(0)
	v_mul_f32_e32 v3, v39, v7
	v_mul_f32_e32 v0, v39, v6
	v_fmac_f32_e32 v3, v38, v6
	v_fma_f32 v6, v38, v7, -v0
	s_clause 0x3
	buffer_load_dword v36, off, s[20:23], 0 offset:384
	buffer_load_dword v37, off, s[20:23], 0 offset:388
	;; [unrolled: 1-line block ×4, first 2 shown]
	s_waitcnt vmcnt(2)
	v_mul_f32_e32 v7, v37, v11
	v_mul_f32_e32 v0, v37, v10
	v_fmac_f32_e32 v7, v36, v10
	v_fma_f32 v10, v36, v11, -v0
	s_waitcnt vmcnt(0)
	v_mul_f32_e32 v11, v39, v15
	v_mul_f32_e32 v0, v39, v14
	v_fmac_f32_e32 v11, v38, v14
	v_fma_f32 v14, v38, v15, -v0
	s_clause 0x3
	buffer_load_dword v36, off, s[20:23], 0 offset:572
	buffer_load_dword v37, off, s[20:23], 0 offset:576
	;; [unrolled: 1-line block ×4, first 2 shown]
	s_waitcnt lgkmcnt(8)
	v_mul_f32_e32 v15, v45, v17
	v_mul_f32_e32 v0, v45, v16
	v_fmac_f32_e32 v15, v44, v16
	v_fma_f32 v16, v44, v17, -v0
	s_waitcnt lgkmcnt(7)
	v_mul_f32_e32 v17, v47, v21
	v_mul_f32_e32 v0, v47, v20
	v_fmac_f32_e32 v17, v46, v20
	v_fma_f32 v20, v46, v21, -v0
	s_waitcnt vmcnt(2) lgkmcnt(6)
	v_mul_f32_e32 v0, v37, v24
	v_mul_f32_e32 v21, v37, v25
	v_fma_f32 v234, v36, v25, -v0
	s_waitcnt vmcnt(0) lgkmcnt(5)
	v_mul_f32_e32 v25, v39, v29
	v_mul_f32_e32 v0, v39, v28
	v_fmac_f32_e32 v21, v36, v24
	v_fmac_f32_e32 v25, v38, v28
	v_fma_f32 v28, v38, v29, -v0
	s_clause 0x3
	buffer_load_dword v36, off, s[20:23], 0 offset:368
	buffer_load_dword v37, off, s[20:23], 0 offset:372
	;; [unrolled: 1-line block ×4, first 2 shown]
	s_waitcnt vmcnt(2)
	v_mul_f32_e32 v0, v37, v18
	v_mul_f32_e32 v235, v37, v19
	s_waitcnt vmcnt(0)
	v_mul_f32_e32 v237, v39, v23
	v_fma_f32 v236, v36, v19, -v0
	v_mul_f32_e32 v0, v39, v22
	v_fmac_f32_e32 v235, v36, v18
	v_fmac_f32_e32 v237, v38, v22
	v_sub_f32_e32 v19, v4, v8
	v_sub_f32_e32 v22, v232, v233
	v_fma_f32 v238, v38, v23, -v0
	s_clause 0x3
	buffer_load_dword v36, off, s[20:23], 0 offset:336
	buffer_load_dword v37, off, s[20:23], 0 offset:340
	;; [unrolled: 1-line block ×4, first 2 shown]
	v_sub_f32_e32 v23, v9, v5
	v_add_f32_e32 v22, v22, v23
	v_sub_f32_e32 v23, v5, v9
	s_waitcnt vmcnt(2)
	v_mul_f32_e32 v0, v37, v26
	v_mul_f32_e32 v239, v37, v27
	s_waitcnt vmcnt(0)
	v_mul_f32_e32 v241, v39, v31
	v_fma_f32 v240, v36, v27, -v0
	v_mul_f32_e32 v0, v39, v30
	v_fmac_f32_e32 v239, v36, v26
	v_fmac_f32_e32 v241, v38, v30
	v_fma_f32 v242, v38, v31, -v0
	s_clause 0x3
	buffer_load_dword v36, off, s[20:23], 0 offset:352
	buffer_load_dword v37, off, s[20:23], 0 offset:356
	;; [unrolled: 1-line block ×4, first 2 shown]
	s_waitcnt vmcnt(2) lgkmcnt(3)
	v_mul_f32_e32 v243, v37, v33
	v_mul_f32_e32 v0, v37, v32
	s_waitcnt vmcnt(0) lgkmcnt(2)
	v_mul_f32_e32 v18, v39, v220
	v_mul_f32_e32 v244, v39, v221
	v_fmac_f32_e32 v243, v36, v32
	s_clause 0x3
	buffer_load_dword v29, off, s[20:23], 0 offset:320
	buffer_load_dword v30, off, s[20:23], 0 offset:324
	;; [unrolled: 1-line block ×4, first 2 shown]
	v_fma_f32 v245, v38, v221, -v18
	v_fma_f32 v0, v36, v33, -v0
	v_fmac_f32_e32 v244, v38, v220
	s_waitcnt vmcnt(2) lgkmcnt(1)
	v_mul_f32_e32 v18, v30, v224
	v_mul_f32_e32 v246, v30, v225
	s_waitcnt vmcnt(0) lgkmcnt(0)
	v_mul_f32_e32 v247, v32, v229
	v_fma_f32 v225, v29, v225, -v18
	v_mul_f32_e32 v18, v32, v228
	v_fmac_f32_e32 v246, v29, v224
	v_fmac_f32_e32 v247, v31, v228
	v_fma_f32 v228, v31, v229, -v18
	s_clause 0x3
	buffer_load_dword v29, off, s[20:23], 0 offset:304
	buffer_load_dword v30, off, s[20:23], 0 offset:308
	;; [unrolled: 1-line block ×4, first 2 shown]
	s_waitcnt vmcnt(2)
	v_mul_f32_e32 v18, v30, v34
	v_mul_f32_e32 v229, v30, v35
	s_waitcnt vmcnt(0)
	v_mul_f32_e32 v248, v32, v223
	v_fma_f32 v81, v29, v35, -v18
	v_mul_f32_e32 v18, v32, v222
	v_fmac_f32_e32 v229, v29, v34
	v_fmac_f32_e32 v248, v31, v222
	v_fma_f32 v224, v31, v223, -v18
	s_clause 0x3
	buffer_load_dword v29, off, s[20:23], 0 offset:288
	buffer_load_dword v30, off, s[20:23], 0 offset:292
	;; [unrolled: 1-line block ×4, first 2 shown]
	s_waitcnt vmcnt(0)
	s_barrier
	buffer_gl0_inv
	v_mul_f32_e32 v249, v30, v227
	v_mul_f32_e32 v18, v30, v226
	v_fmac_f32_e32 v249, v29, v226
	v_fma_f32 v226, v29, v227, -v18
	v_mul_f32_e32 v227, v32, v231
	v_mul_f32_e32 v18, v32, v230
	v_fmac_f32_e32 v227, v31, v230
	v_fma_f32 v230, v31, v231, -v18
	v_add_f32_e32 v18, v216, v232
	v_add_nc_u32_e32 v231, 0x5c00, v80
	v_add_f32_e32 v18, v18, v233
	v_add_f32_e32 v18, v18, v5
	v_add_f32_e32 v44, v18, v9
	v_add_f32_e32 v18, v233, v5
	v_sub_f32_e32 v5, v233, v5
	v_fma_f32 v36, -0.5, v18, v216
	v_sub_f32_e32 v18, v1, v12
	v_fmamk_f32 v46, v18, 0xbf737871, v36
	v_fmac_f32_e32 v36, 0x3f737871, v18
	v_fmac_f32_e32 v46, 0xbf167918, v19
	;; [unrolled: 1-line block ×5, first 2 shown]
	v_add_f32_e32 v22, v232, v9
	v_sub_f32_e32 v9, v232, v9
	v_fma_f32 v40, -0.5, v22, v216
	v_sub_f32_e32 v22, v233, v232
	v_fmamk_f32 v42, v19, 0x3f737871, v40
	v_fmac_f32_e32 v40, 0xbf737871, v19
	v_sub_f32_e32 v19, v12, v8
	v_add_f32_e32 v22, v22, v23
	v_fmac_f32_e32 v42, 0xbf167918, v18
	v_fmac_f32_e32 v40, 0x3f167918, v18
	v_add_f32_e32 v18, v217, v1
	v_fmac_f32_e32 v42, 0x3e9e377a, v22
	v_fmac_f32_e32 v40, 0x3e9e377a, v22
	v_add_f32_e32 v18, v18, v4
	v_add_f32_e32 v18, v18, v8
	;; [unrolled: 1-line block ×4, first 2 shown]
	v_fma_f32 v37, -0.5, v18, v217
	v_sub_f32_e32 v18, v1, v4
	v_fmamk_f32 v47, v9, 0x3f737871, v37
	v_fmac_f32_e32 v37, 0xbf737871, v9
	v_add_f32_e32 v18, v18, v19
	v_fmac_f32_e32 v47, 0x3f167918, v5
	v_fmac_f32_e32 v37, 0xbf167918, v5
	;; [unrolled: 1-line block ×4, first 2 shown]
	v_add_f32_e32 v18, v1, v12
	v_sub_f32_e32 v1, v4, v1
	v_sub_f32_e32 v4, v8, v12
	;; [unrolled: 1-line block ×3, first 2 shown]
	v_fma_f32 v41, -0.5, v18, v217
	v_add_f32_e32 v1, v1, v4
	v_sub_f32_e32 v4, v6, v10
	v_fmamk_f32 v43, v5, 0xbf737871, v41
	v_fmac_f32_e32 v41, 0x3f737871, v5
	v_sub_f32_e32 v5, v13, v3
	v_fmac_f32_e32 v43, 0x3f167918, v9
	v_fmac_f32_e32 v41, 0xbf167918, v9
	v_add_f32_e32 v5, v5, v8
	v_sub_f32_e32 v8, v7, v11
	v_fmac_f32_e32 v43, 0x3e9e377a, v1
	v_fmac_f32_e32 v41, 0x3e9e377a, v1
	v_add_f32_e32 v1, v218, v13
	v_add_f32_e32 v1, v1, v3
	;; [unrolled: 1-line block ×5, first 2 shown]
	v_fma_f32 v38, -0.5, v1, v218
	v_sub_f32_e32 v1, v2, v14
	v_fmamk_f32 v222, v1, 0xbf737871, v38
	v_fmac_f32_e32 v38, 0x3f737871, v1
	v_fmac_f32_e32 v222, 0xbf167918, v4
	;; [unrolled: 1-line block ×5, first 2 shown]
	v_add_f32_e32 v5, v13, v11
	v_fma_f32 v218, -0.5, v5, v218
	v_sub_f32_e32 v5, v3, v13
	v_sub_f32_e32 v3, v3, v7
	v_sub_f32_e32 v7, v228, v225
	v_fmamk_f32 v216, v4, 0x3f737871, v218
	v_fmac_f32_e32 v218, 0xbf737871, v4
	v_add_f32_e32 v5, v5, v8
	v_sub_f32_e32 v4, v2, v6
	v_fmac_f32_e32 v216, 0xbf167918, v1
	v_fmac_f32_e32 v218, 0x3f167918, v1
	v_add_f32_e32 v1, v219, v2
	v_fmac_f32_e32 v216, 0x3e9e377a, v5
	v_fmac_f32_e32 v218, 0x3e9e377a, v5
	v_add_f32_e32 v1, v1, v6
	v_sub_f32_e32 v5, v14, v10
	v_add_f32_e32 v1, v1, v10
	v_add_f32_e32 v4, v4, v5
	v_sub_f32_e32 v5, v247, v246
	v_add_f32_e32 v221, v1, v14
	v_add_f32_e32 v1, v6, v10
	v_fma_f32 v39, -0.5, v1, v219
	v_sub_f32_e32 v1, v13, v11
	v_sub_f32_e32 v11, v227, v249
	v_sub_f32_e32 v13, v249, v227
	v_fmamk_f32 v223, v1, 0x3f737871, v39
	v_fmac_f32_e32 v39, 0xbf737871, v1
	v_fmac_f32_e32 v223, 0x3f167918, v3
	;; [unrolled: 1-line block ×5, first 2 shown]
	v_add_f32_e32 v4, v2, v14
	v_sub_f32_e32 v2, v6, v2
	v_fmac_f32_e32 v219, -0.5, v4
	v_sub_f32_e32 v4, v10, v14
	v_fmamk_f32 v217, v3, 0xbf737871, v219
	v_fmac_f32_e32 v219, 0x3f737871, v3
	v_add_f32_e32 v2, v2, v4
	v_sub_f32_e32 v3, v15, v17
	v_sub_f32_e32 v4, v25, v21
	v_fmac_f32_e32 v217, 0x3f167918, v1
	v_fmac_f32_e32 v219, 0xbf167918, v1
	v_add_f32_e32 v1, v212, v15
	v_add_f32_e32 v3, v3, v4
	v_fmac_f32_e32 v217, 0x3e9e377a, v2
	v_fmac_f32_e32 v219, 0x3e9e377a, v2
	v_add_f32_e32 v1, v1, v17
	v_sub_f32_e32 v2, v20, v234
	v_sub_f32_e32 v4, v21, v25
	v_add_f32_e32 v1, v1, v21
	v_add_f32_e32 v32, v1, v25
	;; [unrolled: 1-line block ×3, first 2 shown]
	v_fma_f32 v22, -0.5, v1, v212
	v_sub_f32_e32 v1, v16, v28
	v_fmamk_f32 v34, v1, 0xbf737871, v22
	v_fmac_f32_e32 v22, 0x3f737871, v1
	v_fmac_f32_e32 v34, 0xbf167918, v2
	;; [unrolled: 1-line block ×5, first 2 shown]
	v_add_f32_e32 v3, v15, v25
	v_fma_f32 v24, -0.5, v3, v212
	v_sub_f32_e32 v3, v17, v15
	v_sub_f32_e32 v212, v230, v226
	v_fmamk_f32 v26, v2, 0x3f737871, v24
	v_fmac_f32_e32 v24, 0xbf737871, v2
	v_add_f32_e32 v3, v3, v4
	v_sub_f32_e32 v2, v17, v21
	v_sub_f32_e32 v4, v28, v234
	v_fmac_f32_e32 v26, 0xbf167918, v1
	v_fmac_f32_e32 v24, 0x3f167918, v1
	v_add_f32_e32 v1, v213, v16
	v_fmac_f32_e32 v26, 0x3e9e377a, v3
	v_fmac_f32_e32 v24, 0x3e9e377a, v3
	v_add_f32_e32 v1, v1, v20
	v_sub_f32_e32 v3, v16, v20
	v_add_f32_e32 v1, v1, v234
	v_add_f32_e32 v3, v3, v4
	v_sub_f32_e32 v4, v234, v28
	v_add_f32_e32 v33, v1, v28
	v_add_f32_e32 v1, v20, v234
	v_add_nc_u32_e32 v234, 0x4000, v80
	v_fma_f32 v23, -0.5, v1, v213
	v_sub_f32_e32 v1, v15, v25
	v_fmamk_f32 v35, v1, 0x3f737871, v23
	v_fmac_f32_e32 v23, 0xbf737871, v1
	v_fmac_f32_e32 v35, 0x3f167918, v2
	;; [unrolled: 1-line block ×5, first 2 shown]
	v_add_f32_e32 v3, v16, v28
	v_fma_f32 v25, -0.5, v3, v213
	v_sub_f32_e32 v3, v20, v16
	v_fmamk_f32 v27, v2, 0xbf737871, v25
	v_fmac_f32_e32 v25, 0x3f737871, v2
	v_add_f32_e32 v3, v3, v4
	v_sub_f32_e32 v2, v238, v240
	v_sub_f32_e32 v4, v241, v239
	v_fmac_f32_e32 v27, 0x3f167918, v1
	v_fmac_f32_e32 v25, 0xbf167918, v1
	v_add_f32_e32 v1, v214, v235
	v_fmac_f32_e32 v27, 0x3e9e377a, v3
	v_fmac_f32_e32 v25, 0x3e9e377a, v3
	v_add_f32_e32 v1, v1, v237
	v_sub_f32_e32 v3, v235, v237
	v_add_f32_e32 v1, v1, v239
	v_add_f32_e32 v3, v3, v4
	v_sub_f32_e32 v4, v239, v241
	v_add_f32_e32 v28, v1, v241
	v_add_f32_e32 v1, v237, v239
	v_fma_f32 v18, -0.5, v1, v214
	v_sub_f32_e32 v1, v236, v242
	v_fmamk_f32 v30, v1, 0xbf737871, v18
	v_fmac_f32_e32 v18, 0x3f737871, v1
	v_fmac_f32_e32 v30, 0xbf167918, v2
	;; [unrolled: 1-line block ×5, first 2 shown]
	v_add_f32_e32 v3, v235, v241
	v_fma_f32 v214, -0.5, v3, v214
	v_sub_f32_e32 v3, v237, v235
	v_fmamk_f32 v20, v2, 0x3f737871, v214
	v_fmac_f32_e32 v214, 0xbf737871, v2
	v_add_f32_e32 v3, v3, v4
	v_sub_f32_e32 v2, v237, v239
	v_sub_f32_e32 v4, v242, v240
	v_fmac_f32_e32 v20, 0xbf167918, v1
	v_fmac_f32_e32 v214, 0x3f167918, v1
	v_add_f32_e32 v1, v215, v236
	v_fmac_f32_e32 v20, 0x3e9e377a, v3
	v_fmac_f32_e32 v214, 0x3e9e377a, v3
	v_add_f32_e32 v1, v1, v238
	v_sub_f32_e32 v3, v236, v238
	v_add_f32_e32 v1, v1, v240
	v_add_f32_e32 v3, v3, v4
	v_sub_f32_e32 v4, v240, v242
	v_add_f32_e32 v29, v1, v242
	v_add_f32_e32 v1, v238, v240
	v_fma_f32 v19, -0.5, v1, v215
	v_sub_f32_e32 v1, v235, v241
	v_add_nc_u32_e32 v235, 0x2800, v80
	v_fmamk_f32 v31, v1, 0x3f737871, v19
	v_fmac_f32_e32 v19, 0xbf737871, v1
	v_fmac_f32_e32 v31, 0x3f167918, v2
	;; [unrolled: 1-line block ×5, first 2 shown]
	v_add_f32_e32 v3, v236, v242
	v_fmac_f32_e32 v215, -0.5, v3
	v_sub_f32_e32 v3, v238, v236
	v_fmamk_f32 v21, v2, 0xbf737871, v215
	v_fmac_f32_e32 v215, 0x3f737871, v2
	v_add_f32_e32 v3, v3, v4
	v_sub_f32_e32 v2, v245, v225
	v_fmac_f32_e32 v21, 0x3f167918, v1
	v_fmac_f32_e32 v215, 0xbf167918, v1
	v_add_f32_e32 v1, v208, v243
	v_fmac_f32_e32 v21, 0x3e9e377a, v3
	v_fmac_f32_e32 v215, 0x3e9e377a, v3
	v_add_f32_e32 v1, v1, v244
	v_sub_f32_e32 v3, v243, v244
	v_add_f32_e32 v1, v1, v246
	v_add_f32_e32 v3, v3, v5
	v_sub_f32_e32 v5, v246, v247
	v_add_f32_e32 v14, v1, v247
	v_add_f32_e32 v1, v244, v246
	v_fma_f32 v4, -0.5, v1, v208
	v_sub_f32_e32 v1, v0, v228
	v_fmamk_f32 v16, v1, 0xbf737871, v4
	v_fmac_f32_e32 v4, 0x3f737871, v1
	v_fmac_f32_e32 v16, 0xbf167918, v2
	;; [unrolled: 1-line block ×5, first 2 shown]
	v_add_f32_e32 v3, v243, v247
	v_fma_f32 v6, -0.5, v3, v208
	v_sub_f32_e32 v3, v244, v243
	v_sub_f32_e32 v208, v229, v227
	v_fmamk_f32 v8, v2, 0x3f737871, v6
	v_fmac_f32_e32 v6, 0xbf737871, v2
	v_add_f32_e32 v3, v3, v5
	v_sub_f32_e32 v2, v244, v246
	v_fmac_f32_e32 v8, 0xbf167918, v1
	v_fmac_f32_e32 v6, 0x3f167918, v1
	v_add_f32_e32 v1, v209, v0
	v_fmac_f32_e32 v8, 0x3e9e377a, v3
	v_fmac_f32_e32 v6, 0x3e9e377a, v3
	v_add_f32_e32 v1, v1, v245
	v_sub_f32_e32 v3, v0, v245
	v_add_f32_e32 v1, v1, v225
	v_add_f32_e32 v3, v3, v7
	;; [unrolled: 1-line block ×4, first 2 shown]
	v_fma_f32 v5, -0.5, v1, v209
	v_sub_f32_e32 v1, v243, v247
	v_fmamk_f32 v17, v1, 0x3f737871, v5
	v_fmac_f32_e32 v5, 0xbf737871, v1
	v_fmac_f32_e32 v17, 0x3f167918, v2
	;; [unrolled: 1-line block ×5, first 2 shown]
	v_add_f32_e32 v3, v0, v228
	v_sub_f32_e32 v0, v245, v0
	v_fma_f32 v7, -0.5, v3, v209
	v_sub_f32_e32 v3, v225, v228
	v_sub_f32_e32 v209, v248, v249
	v_add_nc_u32_e32 v228, 0x7400, v80
	v_fmamk_f32 v9, v2, 0xbf737871, v7
	v_fmac_f32_e32 v7, 0x3f737871, v2
	v_add_f32_e32 v0, v0, v3
	v_sub_f32_e32 v3, v224, v226
	v_sub_f32_e32 v2, v229, v248
	v_fmac_f32_e32 v9, 0x3f167918, v1
	v_fmac_f32_e32 v7, 0xbf167918, v1
	v_sub_f32_e32 v1, v81, v230
	v_add_f32_e32 v2, v2, v11
	v_fmac_f32_e32 v9, 0x3e9e377a, v0
	v_fmac_f32_e32 v7, 0x3e9e377a, v0
	v_add_f32_e32 v0, v210, v229
	v_sub_f32_e32 v11, v248, v229
	v_add_f32_e32 v0, v0, v248
	v_add_f32_e32 v11, v11, v13
	;; [unrolled: 1-line block ×5, first 2 shown]
	v_fma_f32 v0, -0.5, v0, v210
	v_fmamk_f32 v12, v1, 0xbf737871, v0
	v_fmac_f32_e32 v0, 0x3f737871, v1
	v_fmac_f32_e32 v12, 0xbf167918, v3
	;; [unrolled: 1-line block ×5, first 2 shown]
	v_add_f32_e32 v2, v229, v227
	v_fma_f32 v210, -0.5, v2, v210
	v_fmamk_f32 v2, v3, 0x3f737871, v210
	v_fmac_f32_e32 v210, 0xbf737871, v3
	v_sub_f32_e32 v3, v81, v224
	v_fmac_f32_e32 v2, 0xbf167918, v1
	v_fmac_f32_e32 v210, 0x3f167918, v1
	v_add_f32_e32 v1, v211, v81
	v_add_f32_e32 v3, v3, v212
	v_sub_f32_e32 v212, v226, v230
	v_fmac_f32_e32 v2, 0x3e9e377a, v11
	v_fmac_f32_e32 v210, 0x3e9e377a, v11
	v_add_f32_e32 v1, v1, v224
	v_add_f32_e32 v1, v1, v226
	;; [unrolled: 1-line block ×4, first 2 shown]
	v_fma_f32 v1, -0.5, v1, v211
	v_fmamk_f32 v13, v208, 0x3f737871, v1
	v_fmac_f32_e32 v1, 0xbf737871, v208
	v_fmac_f32_e32 v13, 0x3f167918, v209
	;; [unrolled: 1-line block ×5, first 2 shown]
	v_add_f32_e32 v3, v81, v230
	v_sub_f32_e32 v81, v224, v81
	v_fmac_f32_e32 v211, -0.5, v3
	v_add_f32_e32 v81, v81, v212
	v_fmamk_f32 v3, v209, 0xbf737871, v211
	v_fmac_f32_e32 v211, 0x3f737871, v209
	v_fmac_f32_e32 v3, 0x3f167918, v208
	;; [unrolled: 1-line block ×5, first 2 shown]
	buffer_load_dword v81, off, s[20:23], 0 offset:420 ; 4-byte Folded Reload
	s_waitcnt vmcnt(0)
	ds_write2_b64 v81, v[44:45], v[46:47] offset1:10
	ds_write2_b64 v81, v[42:43], v[40:41] offset0:20 offset1:30
	ds_write_b64 v81, v[36:37] offset:320
	buffer_load_dword v36, off, s[20:23], 0 offset:436 ; 4-byte Folded Reload
	s_waitcnt vmcnt(0)
	ds_write2_b64 v36, v[220:221], v[222:223] offset1:10
	ds_write2_b64 v36, v[216:217], v[218:219] offset0:20 offset1:30
	ds_write_b64 v36, v[38:39] offset:320
	;; [unrolled: 5-line block ×6, first 2 shown]
	s_waitcnt lgkmcnt(0)
	s_barrier
	buffer_gl0_inv
	ds_read2_b64 v[16:19], v80 offset1:135
	ds_read2_b64 v[20:23], v235 offset0:70 offset1:205
	v_mov_b32_e32 v220, v82
	ds_read2_b64 v[24:27], v82 offset0:12 offset1:147
	ds_read2_b64 v[12:15], v250 offset0:14 offset1:149
	;; [unrolled: 1-line block ×3, first 2 shown]
	v_add_nc_u32_e32 v82, 0x1000, v80
	v_add_nc_u32_e32 v221, 0x6400, v80
	ds_read2_b64 v[32:35], v231 offset0:26 offset1:161
	ds_read2_b64 v[8:11], v82 offset0:28 offset1:163
	;; [unrolled: 1-line block ×10, first 2 shown]
	s_clause 0x3
	buffer_load_dword v224, off, s[20:23], 0 offset:404
	buffer_load_dword v225, off, s[20:23], 0 offset:408
	;; [unrolled: 1-line block ×4, first 2 shown]
	s_waitcnt vmcnt(0) lgkmcnt(0)
	s_barrier
	buffer_gl0_inv
	v_mul_f32_e32 v81, v225, v21
	v_fmac_f32_e32 v81, v224, v20
	v_mul_f32_e32 v20, v225, v20
	v_fma_f32 v20, v224, v21, -v20
	v_mul_f32_e32 v21, v227, v25
	v_fmac_f32_e32 v21, v226, v24
	v_mul_f32_e32 v24, v227, v24
	v_fma_f32 v24, v226, v25, -v24
	;; [unrolled: 4-line block ×6, first 2 shown]
	v_mul_f32_e32 v33, v61, v31
	v_fmac_f32_e32 v33, v60, v30
	v_mul_f32_e32 v30, v61, v30
	v_mul_f32_e32 v61, v67, v41
	v_fma_f32 v30, v60, v31, -v30
	v_mul_f32_e32 v31, v63, v35
	v_mul_f32_e32 v60, v65, v37
	v_fmac_f32_e32 v61, v66, v40
	v_fmac_f32_e32 v31, v62, v34
	v_mul_f32_e32 v34, v63, v34
	v_fmac_f32_e32 v60, v64, v36
	v_mul_f32_e32 v63, v69, v39
	v_fma_f32 v34, v62, v35, -v34
	v_mul_f32_e32 v35, v65, v36
	v_mul_f32_e32 v36, v67, v40
	v_fmac_f32_e32 v63, v68, v38
	v_mul_f32_e32 v65, v71, v43
	v_mul_f32_e32 v67, v73, v45
	v_fma_f32 v35, v64, v37, -v35
	v_fma_f32 v62, v66, v41, -v36
	v_mul_f32_e32 v36, v69, v38
	v_fmac_f32_e32 v65, v70, v42
	v_fmac_f32_e32 v67, v72, v44
	v_mul_f32_e32 v69, v75, v209
	v_fma_f32 v64, v68, v39, -v36
	v_mul_f32_e32 v36, v71, v42
	v_mul_f32_e32 v71, v77, v47
	v_fmac_f32_e32 v69, v74, v208
	v_fma_f32 v66, v70, v43, -v36
	v_mul_f32_e32 v36, v73, v44
	v_fmac_f32_e32 v71, v76, v46
	v_mul_f32_e32 v73, v79, v211
	v_fma_f32 v68, v72, v45, -v36
	v_mul_f32_e32 v36, v75, v208
	v_fmac_f32_e32 v73, v78, v210
	v_mul_f32_e32 v75, v49, v213
	v_fma_f32 v70, v74, v209, -v36
	v_mul_f32_e32 v36, v77, v46
	v_mul_f32_e32 v77, v51, v217
	v_fmac_f32_e32 v75, v48, v212
	v_fma_f32 v72, v76, v47, -v36
	v_mul_f32_e32 v36, v79, v210
	v_mul_f32_e32 v79, v85, v215
	v_fmac_f32_e32 v77, v50, v216
	v_fma_f32 v74, v78, v211, -v36
	v_mul_f32_e32 v36, v49, v212
	v_fmac_f32_e32 v79, v84, v214
	v_fma_f32 v76, v48, v213, -v36
	v_mul_f32_e32 v36, v51, v216
	v_fma_f32 v78, v50, v217, -v36
	v_mul_f32_e32 v36, v85, v214
	v_mul_f32_e32 v85, v87, v219
	v_fma_f32 v84, v84, v215, -v36
	v_mul_f32_e32 v36, v87, v218
	v_fmac_f32_e32 v85, v86, v218
	v_fma_f32 v86, v86, v219, -v36
	v_add_f32_e32 v36, v16, v81
	v_add_f32_e32 v54, v36, v21
	v_add_f32_e32 v36, v81, v21
	v_fma_f32 v50, -0.5, v36, v16
	v_sub_f32_e32 v16, v20, v24
	v_fmamk_f32 v58, v16, 0xbf5db3d7, v50
	v_fmac_f32_e32 v50, 0x3f5db3d7, v16
	v_add_f32_e32 v16, v17, v20
	v_add_f32_e32 v55, v16, v24
	v_add_f32_e32 v16, v20, v24
	v_fma_f32 v51, -0.5, v16, v17
	v_sub_f32_e32 v16, v81, v21
	v_fmamk_f32 v59, v16, 0x3f5db3d7, v51
	v_fmac_f32_e32 v51, 0xbf5db3d7, v16
	;; [unrolled: 7-line block ×3, first 2 shown]
	v_add_f32_e32 v16, v19, v22
	v_add_f32_e32 v53, v16, v26
	;; [unrolled: 1-line block ×3, first 2 shown]
	v_fmac_f32_e32 v19, -0.5, v16
	v_sub_f32_e32 v16, v25, v23
	v_fmamk_f32 v57, v16, 0x3f5db3d7, v19
	v_fmac_f32_e32 v19, 0xbf5db3d7, v16
	v_add_f32_e32 v16, v12, v27
	v_add_f32_e32 v46, v16, v29
	v_add_f32_e32 v16, v27, v29
	v_fma_f32 v44, -0.5, v16, v12
	v_sub_f32_e32 v12, v28, v32
	v_fmamk_f32 v48, v12, 0xbf5db3d7, v44
	v_fmac_f32_e32 v44, 0x3f5db3d7, v12
	v_add_f32_e32 v12, v13, v28
	v_add_f32_e32 v47, v12, v32
	v_add_f32_e32 v12, v28, v32
	v_fma_f32 v45, -0.5, v12, v13
	;; [unrolled: 7-line block ×3, first 2 shown]
	v_sub_f32_e32 v12, v30, v34
	v_fmamk_f32 v42, v12, 0xbf5db3d7, v14
	v_fmac_f32_e32 v14, 0x3f5db3d7, v12
	v_add_f32_e32 v12, v15, v30
	v_add_f32_e32 v41, v12, v34
	v_add_f32_e32 v12, v30, v34
	v_fmac_f32_e32 v15, -0.5, v12
	v_sub_f32_e32 v12, v33, v31
	v_fmamk_f32 v43, v12, 0x3f5db3d7, v15
	v_fmac_f32_e32 v15, 0xbf5db3d7, v12
	v_add_f32_e32 v12, v8, v60
	v_add_f32_e32 v36, v12, v61
	v_add_f32_e32 v12, v60, v61
	v_fma_f32 v34, -0.5, v12, v8
	v_sub_f32_e32 v8, v35, v62
	v_fmamk_f32 v38, v8, 0xbf5db3d7, v34
	v_fmac_f32_e32 v34, 0x3f5db3d7, v8
	v_add_f32_e32 v8, v9, v35
	v_add_f32_e32 v37, v8, v62
	v_add_f32_e32 v8, v35, v62
	v_fma_f32 v35, -0.5, v8, v9
	v_sub_f32_e32 v8, v60, v61
	v_sub_f32_e32 v60, v79, v85
	v_fmamk_f32 v39, v8, 0x3f5db3d7, v35
	v_fmac_f32_e32 v35, 0xbf5db3d7, v8
	v_add_f32_e32 v8, v10, v63
	v_add_f32_e32 v30, v8, v65
	;; [unrolled: 1-line block ×3, first 2 shown]
	v_fma_f32 v10, -0.5, v8, v10
	v_sub_f32_e32 v8, v64, v66
	v_fmamk_f32 v32, v8, 0xbf5db3d7, v10
	v_fmac_f32_e32 v10, 0x3f5db3d7, v8
	v_add_f32_e32 v8, v11, v64
	v_add_f32_e32 v31, v8, v66
	;; [unrolled: 1-line block ×3, first 2 shown]
	v_fmac_f32_e32 v11, -0.5, v8
	v_sub_f32_e32 v8, v63, v65
	v_fmamk_f32 v33, v8, 0x3f5db3d7, v11
	v_fmac_f32_e32 v11, 0xbf5db3d7, v8
	v_add_f32_e32 v8, v4, v67
	v_add_f32_e32 v26, v8, v69
	;; [unrolled: 1-line block ×3, first 2 shown]
	v_fma_f32 v24, -0.5, v8, v4
	v_sub_f32_e32 v4, v68, v70
	v_fmamk_f32 v28, v4, 0xbf5db3d7, v24
	v_fmac_f32_e32 v24, 0x3f5db3d7, v4
	v_add_f32_e32 v4, v5, v68
	v_add_f32_e32 v27, v4, v70
	;; [unrolled: 1-line block ×3, first 2 shown]
	v_fma_f32 v25, -0.5, v4, v5
	v_sub_f32_e32 v4, v67, v69
	v_add_f32_e32 v5, v84, v86
	v_fmamk_f32 v29, v4, 0x3f5db3d7, v25
	v_fmac_f32_e32 v25, 0xbf5db3d7, v4
	v_add_f32_e32 v4, v6, v71
	v_add_f32_e32 v20, v4, v73
	;; [unrolled: 1-line block ×3, first 2 shown]
	v_fma_f32 v6, -0.5, v4, v6
	v_sub_f32_e32 v4, v72, v74
	v_fmamk_f32 v22, v4, 0xbf5db3d7, v6
	v_fmac_f32_e32 v6, 0x3f5db3d7, v4
	v_add_f32_e32 v4, v7, v72
	v_add_f32_e32 v21, v4, v74
	;; [unrolled: 1-line block ×3, first 2 shown]
	v_fmac_f32_e32 v7, -0.5, v4
	v_sub_f32_e32 v4, v71, v73
	v_fmamk_f32 v23, v4, 0x3f5db3d7, v7
	v_fmac_f32_e32 v7, 0xbf5db3d7, v4
	v_add_f32_e32 v4, v0, v75
	v_add_f32_e32 v12, v4, v77
	v_add_f32_e32 v4, v75, v77
	v_fma_f32 v8, -0.5, v4, v0
	v_sub_f32_e32 v0, v76, v78
	v_fmamk_f32 v16, v0, 0xbf5db3d7, v8
	v_fmac_f32_e32 v8, 0x3f5db3d7, v0
	v_add_f32_e32 v0, v1, v76
	v_add_f32_e32 v13, v0, v78
	;; [unrolled: 1-line block ×3, first 2 shown]
	v_fma_f32 v9, -0.5, v0, v1
	v_sub_f32_e32 v0, v75, v77
	v_add_f32_e32 v1, v79, v85
	v_fmamk_f32 v17, v0, 0x3f5db3d7, v9
	v_fmac_f32_e32 v9, 0xbf5db3d7, v0
	v_add_f32_e32 v0, v2, v79
	v_fma_f32 v2, -0.5, v1, v2
	v_sub_f32_e32 v1, v84, v86
	v_add_f32_e32 v0, v0, v85
	v_fmamk_f32 v4, v1, 0xbf5db3d7, v2
	v_fmac_f32_e32 v2, 0x3f5db3d7, v1
	v_add_f32_e32 v1, v3, v84
	v_fmac_f32_e32 v3, -0.5, v5
	v_add_f32_e32 v1, v1, v86
	v_fmamk_f32 v5, v60, 0x3f5db3d7, v3
	v_fmac_f32_e32 v3, 0xbf5db3d7, v60
	buffer_load_dword v60, off, s[20:23], 0 offset:444 ; 4-byte Folded Reload
	s_waitcnt vmcnt(0)
	ds_write2_b64 v60, v[54:55], v[58:59] offset1:50
	ds_write_b64 v60, v[50:51] offset:800
	buffer_load_dword v50, off, s[20:23], 0 offset:448 ; 4-byte Folded Reload
	s_waitcnt vmcnt(0)
	ds_write2_b64 v50, v[52:53], v[56:57] offset1:50
	ds_write_b64 v50, v[18:19] offset:800
	;; [unrolled: 4-line block ×10, first 2 shown]
	s_waitcnt lgkmcnt(0)
	s_barrier
	buffer_gl0_inv
	ds_read2_b64 v[16:19], v80 offset1:135
	ds_read2_b64 v[20:23], v235 offset0:70 offset1:205
	ds_read2_b64 v[24:27], v220 offset0:12 offset1:147
	;; [unrolled: 1-line block ×14, first 2 shown]
	s_waitcnt lgkmcnt(0)
	s_barrier
	buffer_gl0_inv
	v_mul_f32_e32 v60, v89, v21
	v_fmac_f32_e32 v60, v88, v20
	v_mul_f32_e32 v20, v89, v20
	v_mul_f32_e32 v61, v105, v37
	;; [unrolled: 1-line block ×5, first 2 shown]
	v_fma_f32 v20, v88, v21, -v20
	v_mul_f32_e32 v21, v91, v25
	v_fmac_f32_e32 v61, v104, v36
	v_mul_f32_e32 v81, v129, v55
	v_fmac_f32_e32 v74, v118, v50
	v_mul_f32_e32 v85, v131, v59
	v_fmac_f32_e32 v21, v90, v24
	v_mul_f32_e32 v24, v91, v24
	v_fmac_f32_e32 v81, v128, v54
	v_mul_f32_e32 v76, v121, v53
	v_fmac_f32_e32 v85, v130, v58
	v_mul_f32_e32 v78, v123, v57
	v_fma_f32 v24, v90, v25, -v24
	v_mul_f32_e32 v25, v93, v23
	v_fmac_f32_e32 v76, v120, v52
	v_mul_f32_e32 v68, v113, v45
	v_fmac_f32_e32 v78, v122, v56
	v_fmac_f32_e32 v72, v116, v46
	;; [unrolled: 1-line block ×3, first 2 shown]
	v_mul_f32_e32 v22, v93, v22
	v_fmac_f32_e32 v68, v112, v44
	v_mul_f32_e32 v70, v115, v49
	v_fmac_f32_e32 v62, v106, v40
	v_mul_f32_e32 v66, v111, v43
	v_fma_f32 v22, v92, v23, -v22
	v_mul_f32_e32 v23, v95, v27
	v_fmac_f32_e32 v70, v114, v48
	v_mul_f32_e32 v64, v109, v39
	v_fmac_f32_e32 v66, v110, v42
	v_add_nc_u32_e32 v88, 0x2c00, v80
	v_fmac_f32_e32 v23, v94, v26
	v_mul_f32_e32 v26, v95, v26
	v_fmac_f32_e32 v64, v108, v38
	v_fma_f32 v26, v94, v27, -v26
	v_mul_f32_e32 v27, v97, v29
	v_fmac_f32_e32 v27, v96, v28
	v_mul_f32_e32 v28, v97, v28
	v_fma_f32 v28, v96, v29, -v28
	v_mul_f32_e32 v29, v99, v33
	v_fmac_f32_e32 v29, v98, v32
	v_mul_f32_e32 v32, v99, v32
	v_fma_f32 v32, v98, v33, -v32
	v_mul_f32_e32 v33, v101, v31
	v_fmac_f32_e32 v33, v100, v30
	v_mul_f32_e32 v30, v101, v30
	v_fma_f32 v30, v100, v31, -v30
	v_mul_f32_e32 v31, v103, v35
	v_fmac_f32_e32 v31, v102, v34
	v_mul_f32_e32 v34, v103, v34
	v_fma_f32 v34, v102, v35, -v34
	v_mul_f32_e32 v35, v105, v36
	v_mul_f32_e32 v36, v107, v40
	v_fma_f32 v35, v104, v37, -v35
	v_fma_f32 v63, v106, v41, -v36
	v_mul_f32_e32 v36, v109, v38
	v_fma_f32 v65, v108, v39, -v36
	v_mul_f32_e32 v36, v111, v42
	;; [unrolled: 2-line block ×10, first 2 shown]
	v_fma_f32 v86, v130, v59, -v36
	v_add_f32_e32 v36, v16, v60
	v_add_f32_e32 v54, v36, v21
	;; [unrolled: 1-line block ×3, first 2 shown]
	v_fma_f32 v50, -0.5, v36, v16
	v_sub_f32_e32 v16, v20, v24
	v_fmamk_f32 v58, v16, 0xbf5db3d7, v50
	v_fmac_f32_e32 v50, 0x3f5db3d7, v16
	v_add_f32_e32 v16, v17, v20
	v_add_f32_e32 v55, v16, v24
	;; [unrolled: 1-line block ×3, first 2 shown]
	v_fma_f32 v51, -0.5, v16, v17
	v_sub_f32_e32 v16, v60, v21
	v_sub_f32_e32 v60, v81, v85
	v_fmamk_f32 v59, v16, 0x3f5db3d7, v51
	v_fmac_f32_e32 v51, 0xbf5db3d7, v16
	ds_write2_b64 v80, v[54:55], v[58:59] offset1:150
	ds_write_b64 v80, v[50:51] offset:2400
	buffer_load_dword v50, off, s[20:23], 0 offset:488 ; 4-byte Folded Reload
	v_add_f32_e32 v16, v18, v25
	v_add_f32_e32 v52, v16, v23
	;; [unrolled: 1-line block ×3, first 2 shown]
	v_fma_f32 v18, -0.5, v16, v18
	v_sub_f32_e32 v16, v22, v26
	v_fmamk_f32 v56, v16, 0xbf5db3d7, v18
	v_fmac_f32_e32 v18, 0x3f5db3d7, v16
	v_add_f32_e32 v16, v19, v22
	v_add_f32_e32 v53, v16, v26
	;; [unrolled: 1-line block ×3, first 2 shown]
	v_fmac_f32_e32 v19, -0.5, v16
	v_sub_f32_e32 v16, v25, v23
	v_fmamk_f32 v57, v16, 0x3f5db3d7, v19
	v_fmac_f32_e32 v19, 0xbf5db3d7, v16
	s_waitcnt vmcnt(0)
	ds_write2_b64 v50, v[52:53], v[56:57] offset1:150
	ds_write_b64 v50, v[18:19] offset:2400
	buffer_load_dword v18, off, s[20:23], 0 offset:492 ; 4-byte Folded Reload
	v_add_f32_e32 v16, v12, v27
	v_add_f32_e32 v46, v16, v29
	;; [unrolled: 1-line block ×3, first 2 shown]
	v_fma_f32 v44, -0.5, v16, v12
	v_sub_f32_e32 v12, v28, v32
	v_fmamk_f32 v48, v12, 0xbf5db3d7, v44
	v_fmac_f32_e32 v44, 0x3f5db3d7, v12
	v_add_f32_e32 v12, v13, v28
	v_add_f32_e32 v47, v12, v32
	;; [unrolled: 1-line block ×3, first 2 shown]
	v_fma_f32 v45, -0.5, v12, v13
	v_sub_f32_e32 v12, v27, v29
	v_fmamk_f32 v49, v12, 0x3f5db3d7, v45
	v_fmac_f32_e32 v45, 0xbf5db3d7, v12
	s_waitcnt vmcnt(0)
	ds_write2_b64 v18, v[46:47], v[48:49] offset1:150
	ds_write_b64 v18, v[44:45] offset:2400
	buffer_load_dword v18, off, s[20:23], 0 offset:496 ; 4-byte Folded Reload
	v_add_f32_e32 v12, v14, v33
	v_add_f32_e32 v40, v12, v31
	;; [unrolled: 1-line block ×3, first 2 shown]
	v_fma_f32 v14, -0.5, v12, v14
	v_sub_f32_e32 v12, v30, v34
	v_fmamk_f32 v42, v12, 0xbf5db3d7, v14
	v_fmac_f32_e32 v14, 0x3f5db3d7, v12
	v_add_f32_e32 v12, v15, v30
	v_add_f32_e32 v41, v12, v34
	;; [unrolled: 1-line block ×3, first 2 shown]
	v_fmac_f32_e32 v15, -0.5, v12
	v_sub_f32_e32 v12, v33, v31
	v_fmamk_f32 v43, v12, 0x3f5db3d7, v15
	v_fmac_f32_e32 v15, 0xbf5db3d7, v12
	s_waitcnt vmcnt(0)
	ds_write2_b64 v18, v[40:41], v[42:43] offset1:150
	ds_write_b64 v18, v[14:15] offset:2400
	buffer_load_dword v14, off, s[20:23], 0 offset:504 ; 4-byte Folded Reload
	v_add_f32_e32 v12, v8, v61
	v_add_f32_e32 v36, v12, v62
	;; [unrolled: 1-line block ×3, first 2 shown]
	v_fma_f32 v34, -0.5, v12, v8
	v_sub_f32_e32 v8, v35, v63
	v_fmamk_f32 v38, v8, 0xbf5db3d7, v34
	v_fmac_f32_e32 v34, 0x3f5db3d7, v8
	v_add_f32_e32 v8, v9, v35
	v_add_f32_e32 v37, v8, v63
	;; [unrolled: 1-line block ×3, first 2 shown]
	v_fma_f32 v35, -0.5, v8, v9
	v_sub_f32_e32 v8, v61, v62
	v_fmamk_f32 v39, v8, 0x3f5db3d7, v35
	v_fmac_f32_e32 v35, 0xbf5db3d7, v8
	s_waitcnt vmcnt(0)
	ds_write2_b64 v14, v[36:37], v[38:39] offset1:150
	ds_write_b64 v14, v[34:35] offset:2400
	buffer_load_dword v14, off, s[20:23], 0 offset:512 ; 4-byte Folded Reload
	v_add_f32_e32 v8, v10, v64
	v_add_f32_e32 v30, v8, v66
	;; [unrolled: 1-line block ×3, first 2 shown]
	v_fma_f32 v10, -0.5, v8, v10
	v_sub_f32_e32 v8, v65, v67
	v_fmamk_f32 v32, v8, 0xbf5db3d7, v10
	v_fmac_f32_e32 v10, 0x3f5db3d7, v8
	v_add_f32_e32 v8, v11, v65
	v_add_f32_e32 v31, v8, v67
	;; [unrolled: 1-line block ×3, first 2 shown]
	v_fmac_f32_e32 v11, -0.5, v8
	v_sub_f32_e32 v8, v64, v66
	v_fmamk_f32 v33, v8, 0x3f5db3d7, v11
	v_fmac_f32_e32 v11, 0xbf5db3d7, v8
	s_waitcnt vmcnt(0)
	ds_write2_b64 v14, v[30:31], v[32:33] offset1:150
	ds_write_b64 v14, v[10:11] offset:2400
	buffer_load_dword v10, off, s[20:23], 0 offset:516 ; 4-byte Folded Reload
	v_add_f32_e32 v8, v4, v68
	v_add_f32_e32 v26, v8, v70
	;; [unrolled: 1-line block ×3, first 2 shown]
	v_fma_f32 v24, -0.5, v8, v4
	v_sub_f32_e32 v4, v69, v71
	v_fmamk_f32 v28, v4, 0xbf5db3d7, v24
	v_fmac_f32_e32 v24, 0x3f5db3d7, v4
	v_add_f32_e32 v4, v5, v69
	v_add_f32_e32 v27, v4, v71
	;; [unrolled: 1-line block ×3, first 2 shown]
	v_fma_f32 v25, -0.5, v4, v5
	v_sub_f32_e32 v4, v68, v70
	v_add_f32_e32 v5, v84, v86
	v_fmamk_f32 v29, v4, 0x3f5db3d7, v25
	v_fmac_f32_e32 v25, 0xbf5db3d7, v4
	s_waitcnt vmcnt(0)
	ds_write2_b64 v10, v[26:27], v[28:29] offset1:150
	ds_write_b64 v10, v[24:25] offset:2400
	buffer_load_dword v10, off, s[20:23], 0 offset:520 ; 4-byte Folded Reload
	v_add_f32_e32 v4, v6, v72
	v_add_f32_e32 v20, v4, v74
	;; [unrolled: 1-line block ×3, first 2 shown]
	v_fma_f32 v6, -0.5, v4, v6
	v_sub_f32_e32 v4, v73, v75
	v_fmamk_f32 v22, v4, 0xbf5db3d7, v6
	v_fmac_f32_e32 v6, 0x3f5db3d7, v4
	v_add_f32_e32 v4, v7, v73
	v_add_f32_e32 v21, v4, v75
	;; [unrolled: 1-line block ×3, first 2 shown]
	v_fmac_f32_e32 v7, -0.5, v4
	v_sub_f32_e32 v4, v72, v74
	v_fmamk_f32 v23, v4, 0x3f5db3d7, v7
	v_fmac_f32_e32 v7, 0xbf5db3d7, v4
	s_waitcnt vmcnt(0)
	ds_write2_b64 v10, v[20:21], v[22:23] offset1:150
	ds_write_b64 v10, v[6:7] offset:2400
	buffer_load_dword v6, off, s[20:23], 0 offset:484 ; 4-byte Folded Reload
	v_add_f32_e32 v4, v0, v76
	v_add_f32_e32 v12, v4, v78
	;; [unrolled: 1-line block ×3, first 2 shown]
	v_fma_f32 v8, -0.5, v4, v0
	v_sub_f32_e32 v0, v77, v79
	v_fmamk_f32 v16, v0, 0xbf5db3d7, v8
	v_fmac_f32_e32 v8, 0x3f5db3d7, v0
	v_add_f32_e32 v0, v1, v77
	v_add_f32_e32 v13, v0, v79
	;; [unrolled: 1-line block ×3, first 2 shown]
	v_fma_f32 v9, -0.5, v0, v1
	v_sub_f32_e32 v0, v76, v78
	v_add_f32_e32 v1, v81, v85
	v_fmamk_f32 v17, v0, 0x3f5db3d7, v9
	v_fmac_f32_e32 v9, 0xbf5db3d7, v0
	s_waitcnt vmcnt(0)
	ds_write2_b64 v6, v[12:13], v[16:17] offset1:150
	ds_write_b64 v6, v[8:9] offset:2400
	buffer_load_dword v6, off, s[20:23], 0 offset:500 ; 4-byte Folded Reload
	v_add_f32_e32 v0, v2, v81
	v_fma_f32 v2, -0.5, v1, v2
	v_sub_f32_e32 v1, v84, v86
	v_add_f32_e32 v0, v0, v85
	v_fmamk_f32 v4, v1, 0xbf5db3d7, v2
	v_fmac_f32_e32 v2, 0x3f5db3d7, v1
	v_add_f32_e32 v1, v3, v84
	v_fmac_f32_e32 v3, -0.5, v5
	v_add_f32_e32 v1, v1, v86
	v_fmamk_f32 v5, v60, 0x3f5db3d7, v3
	v_fmac_f32_e32 v3, 0xbf5db3d7, v60
	s_waitcnt vmcnt(0)
	ds_write2_b64 v6, v[0:1], v[4:5] offset0:16 offset1:166
	buffer_load_dword v0, off, s[20:23], 0 offset:508 ; 4-byte Folded Reload
	s_waitcnt vmcnt(0)
	ds_write_b64 v0, v[2:3] offset:31200
	s_waitcnt lgkmcnt(0)
	s_barrier
	buffer_gl0_inv
	ds_read2_b64 v[16:19], v80 offset1:135
	ds_read2_b64 v[20:23], v235 offset0:70 offset1:205
	ds_read2_b64 v[24:27], v220 offset0:12 offset1:147
	;; [unrolled: 1-line block ×14, first 2 shown]
	s_waitcnt lgkmcnt(0)
	s_barrier
	buffer_gl0_inv
	v_mul_f32_e32 v60, v125, v21
	v_fmac_f32_e32 v60, v124, v20
	v_mul_f32_e32 v20, v125, v20
	v_mul_f32_e32 v62, v143, v43
	;; [unrolled: 1-line block ×4, first 2 shown]
	v_fma_f32 v20, v124, v21, -v20
	v_mul_f32_e32 v21, v127, v25
	v_mul_f32_e32 v76, v165, v55
	;; [unrolled: 1-line block ×3, first 2 shown]
	v_fmac_f32_e32 v66, v154, v48
	v_mul_f32_e32 v78, v167, v59
	v_fmac_f32_e32 v21, v126, v24
	v_mul_f32_e32 v24, v127, v24
	v_fmac_f32_e32 v76, v164, v54
	v_fmac_f32_e32 v74, v162, v56
	;; [unrolled: 1-line block ×4, first 2 shown]
	v_fma_f32 v24, v126, v25, -v24
	v_mul_f32_e32 v25, v133, v23
	v_mul_f32_e32 v70, v159, v51
	;; [unrolled: 1-line block ×3, first 2 shown]
	v_fmac_f32_e32 v62, v142, v42
	v_mul_f32_e32 v64, v153, v45
	v_fmac_f32_e32 v25, v132, v22
	v_mul_f32_e32 v22, v133, v22
	v_fmac_f32_e32 v70, v158, v50
	v_fmac_f32_e32 v72, v160, v52
	;; [unrolled: 1-line block ×3, first 2 shown]
	v_fma_f32 v22, v132, v23, -v22
	v_mul_f32_e32 v23, v135, v27
	v_fmac_f32_e32 v23, v134, v26
	v_mul_f32_e32 v26, v135, v26
	v_fma_f32 v26, v134, v27, -v26
	v_mul_f32_e32 v27, v137, v29
	v_fmac_f32_e32 v27, v136, v28
	v_mul_f32_e32 v28, v137, v28
	;; [unrolled: 4-line block ×8, first 2 shown]
	v_fma_f32 v61, v140, v39, -v38
	v_mul_f32_e32 v38, v143, v42
	v_fma_f32 v63, v142, v43, -v38
	v_mul_f32_e32 v38, v153, v44
	;; [unrolled: 2-line block ×9, first 2 shown]
	v_fma_f32 v79, v166, v59, -v38
	v_add_f32_e32 v38, v16, v60
	v_add_f32_e32 v48, v38, v21
	;; [unrolled: 1-line block ×3, first 2 shown]
	v_fma_f32 v54, -0.5, v38, v16
	v_sub_f32_e32 v16, v20, v24
	v_fmamk_f32 v56, v16, 0xbf5db3d7, v54
	v_fmac_f32_e32 v54, 0x3f5db3d7, v16
	v_add_f32_e32 v16, v17, v20
	v_add_f32_e32 v49, v16, v24
	;; [unrolled: 1-line block ×3, first 2 shown]
	v_fma_f32 v55, -0.5, v16, v17
	v_sub_f32_e32 v16, v60, v21
	v_sub_f32_e32 v60, v76, v78
	v_fmamk_f32 v57, v16, 0x3f5db3d7, v55
	v_fmac_f32_e32 v55, 0xbf5db3d7, v16
	v_add_f32_e32 v16, v18, v25
	v_add_f32_e32 v58, v16, v23
	;; [unrolled: 1-line block ×3, first 2 shown]
	v_fma_f32 v18, -0.5, v16, v18
	v_sub_f32_e32 v16, v22, v26
	v_fmamk_f32 v46, v16, 0xbf5db3d7, v18
	v_fmac_f32_e32 v18, 0x3f5db3d7, v16
	v_add_f32_e32 v16, v19, v22
	v_add_f32_e32 v59, v16, v26
	;; [unrolled: 1-line block ×3, first 2 shown]
	v_fmac_f32_e32 v19, -0.5, v16
	v_sub_f32_e32 v16, v25, v23
	v_fmamk_f32 v47, v16, 0x3f5db3d7, v19
	v_fmac_f32_e32 v19, 0xbf5db3d7, v16
	v_add_f32_e32 v16, v12, v27
	v_add_f32_e32 v50, v16, v29
	;; [unrolled: 1-line block ×3, first 2 shown]
	v_fma_f32 v38, -0.5, v16, v12
	v_sub_f32_e32 v12, v28, v32
	v_fmamk_f32 v52, v12, 0xbf5db3d7, v38
	v_fmac_f32_e32 v38, 0x3f5db3d7, v12
	v_add_f32_e32 v12, v13, v28
	v_add_f32_e32 v51, v12, v32
	;; [unrolled: 1-line block ×3, first 2 shown]
	v_fma_f32 v39, -0.5, v12, v13
	v_sub_f32_e32 v12, v27, v29
	v_fmamk_f32 v53, v12, 0x3f5db3d7, v39
	v_fmac_f32_e32 v39, 0xbf5db3d7, v12
	ds_write_b64 v80, v[56:57] offset:3600
	ds_write_b64 v80, v[54:55] offset:7200
	ds_write2_b64 v80, v[48:49], v[58:59] offset1:135
	ds_write_b64 v80, v[50:51] offset:2160
	ds_write2_b64 v82, v[46:47], v[52:53] offset0:73 offset1:208
	ds_write2_b64 v83, v[18:19], v[38:39] offset0:11 offset1:146
	buffer_load_dword v18, off, s[20:23], 0 offset:528 ; 4-byte Folded Reload
	v_add_f32_e32 v12, v14, v33
	v_add_f32_e32 v42, v12, v31
	;; [unrolled: 1-line block ×3, first 2 shown]
	v_fma_f32 v14, -0.5, v12, v14
	v_sub_f32_e32 v12, v30, v34
	v_fmamk_f32 v44, v12, 0xbf5db3d7, v14
	v_fmac_f32_e32 v14, 0x3f5db3d7, v12
	v_add_f32_e32 v12, v15, v30
	v_add_f32_e32 v43, v12, v34
	;; [unrolled: 1-line block ×3, first 2 shown]
	v_fmac_f32_e32 v15, -0.5, v12
	v_sub_f32_e32 v12, v33, v31
	v_fmamk_f32 v45, v12, 0x3f5db3d7, v15
	v_fmac_f32_e32 v15, 0xbf5db3d7, v12
	v_add_f32_e32 v12, v8, v35
	s_waitcnt vmcnt(0)
	ds_write_b64 v18, v[42:43]
	ds_write_b64 v18, v[44:45] offset:3600
	ds_write_b64 v18, v[14:15] offset:7200
	v_add_f32_e32 v32, v12, v37
	v_add_f32_e32 v12, v35, v37
	v_add_nc_u32_e32 v14, 0x4800, v80
	v_fma_f32 v30, -0.5, v12, v8
	v_sub_f32_e32 v8, v36, v40
	v_fmamk_f32 v34, v8, 0xbf5db3d7, v30
	v_fmac_f32_e32 v30, 0x3f5db3d7, v8
	v_add_f32_e32 v8, v9, v36
	v_add_f32_e32 v33, v8, v40
	;; [unrolled: 1-line block ×3, first 2 shown]
	v_fma_f32 v31, -0.5, v8, v9
	v_sub_f32_e32 v8, v35, v37
	v_add_f32_e32 v9, v77, v79
	v_fmamk_f32 v35, v8, 0x3f5db3d7, v31
	v_fmac_f32_e32 v31, 0xbf5db3d7, v8
	v_add_f32_e32 v8, v10, v41
	v_add_f32_e32 v36, v8, v62
	;; [unrolled: 1-line block ×3, first 2 shown]
	v_fma_f32 v10, -0.5, v8, v10
	v_sub_f32_e32 v8, v61, v63
	v_fmamk_f32 v40, v8, 0xbf5db3d7, v10
	v_fmac_f32_e32 v10, 0x3f5db3d7, v8
	v_add_f32_e32 v8, v11, v61
	v_add_f32_e32 v37, v8, v63
	;; [unrolled: 1-line block ×3, first 2 shown]
	v_fmac_f32_e32 v11, -0.5, v8
	v_sub_f32_e32 v8, v41, v62
	v_fmamk_f32 v41, v8, 0x3f5db3d7, v11
	v_fmac_f32_e32 v11, 0xbf5db3d7, v8
	ds_write2_b64 v88, v[32:33], v[36:37] offset0:32 offset1:167
	ds_write2_b64 v253, v[34:35], v[40:41] offset0:98 offset1:233
	v_add_f32_e32 v8, v4, v64
	ds_write2_b64 v14, v[30:31], v[10:11] offset0:36 offset1:171
	buffer_load_dword v10, off, s[20:23], 0 offset:532 ; 4-byte Folded Reload
	v_add_f32_e32 v28, v8, v66
	v_add_f32_e32 v8, v64, v66
	v_fma_f32 v20, -0.5, v8, v4
	v_sub_f32_e32 v4, v65, v67
	v_fmamk_f32 v22, v4, 0xbf5db3d7, v20
	v_fmac_f32_e32 v20, 0x3f5db3d7, v4
	v_add_f32_e32 v4, v5, v65
	v_add_f32_e32 v29, v4, v67
	;; [unrolled: 1-line block ×3, first 2 shown]
	v_fma_f32 v21, -0.5, v4, v5
	v_sub_f32_e32 v4, v64, v66
	v_add_f32_e32 v5, v76, v78
	v_fmamk_f32 v23, v4, 0x3f5db3d7, v21
	v_fmac_f32_e32 v21, 0xbf5db3d7, v4
	s_waitcnt vmcnt(0)
	ds_write_b64 v10, v[28:29]
	ds_write_b64 v10, v[22:23] offset:3600
	ds_write_b64 v10, v[20:21] offset:7200
	buffer_load_dword v10, off, s[20:23], 0 offset:536 ; 4-byte Folded Reload
	v_add_f32_e32 v4, v6, v68
	v_add_f32_e32 v24, v4, v70
	;; [unrolled: 1-line block ×3, first 2 shown]
	v_fma_f32 v6, -0.5, v4, v6
	v_sub_f32_e32 v4, v69, v71
	v_fmamk_f32 v26, v4, 0xbf5db3d7, v6
	v_fmac_f32_e32 v6, 0x3f5db3d7, v4
	v_add_f32_e32 v4, v7, v69
	v_add_f32_e32 v25, v4, v71
	;; [unrolled: 1-line block ×3, first 2 shown]
	v_fmac_f32_e32 v7, -0.5, v4
	v_sub_f32_e32 v4, v68, v70
	v_fmamk_f32 v27, v4, 0x3f5db3d7, v7
	v_fmac_f32_e32 v7, 0xbf5db3d7, v4
	s_waitcnt vmcnt(0)
	ds_write_b64 v10, v[24:25] offset:21600
	ds_write_b64 v10, v[26:27] offset:25200
	;; [unrolled: 1-line block ×3, first 2 shown]
	buffer_load_dword v6, off, s[20:23], 0 offset:540 ; 4-byte Folded Reload
	v_add_f32_e32 v4, v0, v72
	v_add_f32_e32 v12, v4, v74
	;; [unrolled: 1-line block ×3, first 2 shown]
	v_fma_f32 v0, -0.5, v4, v0
	v_sub_f32_e32 v4, v73, v75
	v_fmamk_f32 v16, v4, 0xbf5db3d7, v0
	v_fmac_f32_e32 v0, 0x3f5db3d7, v4
	v_add_f32_e32 v4, v1, v73
	v_add_f32_e32 v13, v4, v75
	;; [unrolled: 1-line block ×3, first 2 shown]
	v_fma_f32 v1, -0.5, v4, v1
	v_sub_f32_e32 v4, v72, v74
	v_fmamk_f32 v17, v4, 0x3f5db3d7, v1
	v_fmac_f32_e32 v1, 0xbf5db3d7, v4
	s_waitcnt vmcnt(0)
	ds_write_b64 v6, v[12:13] offset:21600
	ds_write_b64 v6, v[16:17] offset:25200
	;; [unrolled: 1-line block ×3, first 2 shown]
	buffer_load_dword v0, off, s[20:23], 0 offset:544 ; 4-byte Folded Reload
	v_add_f32_e32 v4, v2, v76
	v_fma_f32 v2, -0.5, v5, v2
	v_sub_f32_e32 v5, v77, v79
	v_add_f32_e32 v4, v4, v78
	v_fmamk_f32 v8, v5, 0xbf5db3d7, v2
	v_fmac_f32_e32 v2, 0x3f5db3d7, v5
	v_add_f32_e32 v5, v3, v77
	v_fmac_f32_e32 v3, -0.5, v9
	v_add_f32_e32 v5, v5, v79
	v_fmamk_f32 v9, v60, 0x3f5db3d7, v3
	v_fmac_f32_e32 v3, 0xbf5db3d7, v60
	s_waitcnt vmcnt(0)
	ds_write_b64 v0, v[4:5] offset:21600
	ds_write_b64 v0, v[8:9] offset:25200
	;; [unrolled: 1-line block ×3, first 2 shown]
	s_waitcnt lgkmcnt(0)
	s_barrier
	buffer_gl0_inv
	ds_read2_b64 v[16:19], v80 offset1:135
	ds_read2_b64 v[20:23], v235 offset0:70 offset1:205
	ds_read2_b64 v[24:27], v220 offset0:12 offset1:147
	ds_read2_b64 v[12:15], v250 offset0:14 offset1:149
	ds_read2_b64 v[28:31], v255 offset0:84 offset1:219
	ds_read2_b64 v[32:35], v231 offset0:26 offset1:161
	ds_read2_b64 v[8:11], v82 offset0:28 offset1:163
	ds_read2_b64 v[36:39], v253 offset0:98 offset1:233
	ds_read2_b64 v[40:43], v221 offset0:40 offset1:175
	ds_read2_b64 v[4:7], v251 offset0:42 offset1:177
	ds_read2_b64 v[44:47], v234 offset0:112 offset1:247
	ds_read2_b64 v[48:51], v254 offset0:54 offset1:189
	ds_read2_b64 v[0:3], v83 offset0:56 offset1:191
	ds_read2_b64 v[52:55], v252 offset0:62 offset1:197
	ds_read2_b64 v[56:59], v228 offset0:68 offset1:203
	s_waitcnt lgkmcnt(13)
	v_mul_f32_e32 v60, v169, v21
	v_fmac_f32_e32 v60, v168, v20
	v_mul_f32_e32 v20, v169, v20
	s_waitcnt lgkmcnt(6)
	v_mul_f32_e32 v61, v199, v41
	v_mul_f32_e32 v63, v193, v39
	s_waitcnt lgkmcnt(4)
	v_mul_f32_e32 v71, v181, v47
	s_waitcnt lgkmcnt(3)
	v_mul_f32_e32 v73, v183, v51
	v_fma_f32 v20, v168, v21, -v20
	v_mul_f32_e32 v21, v171, v25
	v_fmac_f32_e32 v61, v198, v40
	v_fmac_f32_e32 v71, v180, v46
	;; [unrolled: 1-line block ×3, first 2 shown]
	s_waitcnt lgkmcnt(1)
	v_mul_f32_e32 v79, v173, v55
	v_fmac_f32_e32 v21, v170, v24
	v_mul_f32_e32 v24, v171, v24
	s_waitcnt lgkmcnt(0)
	v_mul_f32_e32 v77, v179, v57
	v_fmac_f32_e32 v63, v192, v38
	v_fmac_f32_e32 v79, v172, v54
	v_mul_f32_e32 v69, v187, v49
	v_fma_f32 v24, v170, v25, -v24
	v_mul_f32_e32 v25, v189, v23
	v_fmac_f32_e32 v77, v178, v56
	v_mul_f32_e32 v84, v175, v59
	v_fmac_f32_e32 v69, v186, v48
	;; [unrolled: 2-line block ×5, first 2 shown]
	v_mul_f32_e32 v75, v177, v53
	v_fma_f32 v22, v188, v23, -v22
	v_mul_f32_e32 v23, v191, v27
	v_fmac_f32_e32 v67, v184, v44
	v_fmac_f32_e32 v75, v176, v52
	;; [unrolled: 1-line block ×3, first 2 shown]
	v_mul_f32_e32 v26, v191, v26
	v_fma_f32 v26, v190, v27, -v26
	v_mul_f32_e32 v27, v205, v29
	v_fmac_f32_e32 v27, v204, v28
	v_mul_f32_e32 v28, v205, v28
	v_fma_f32 v28, v204, v29, -v28
	v_mul_f32_e32 v29, v207, v33
	v_fmac_f32_e32 v29, v206, v32
	;; [unrolled: 4-line block ×5, first 2 shown]
	v_mul_f32_e32 v36, v197, v36
	v_fma_f32 v37, v196, v37, -v36
	v_mul_f32_e32 v36, v199, v40
	v_fma_f32 v62, v198, v41, -v36
	;; [unrolled: 2-line block ×12, first 2 shown]
	v_add_f32_e32 v36, v16, v60
	v_add_f32_e32 v40, v36, v21
	;; [unrolled: 1-line block ×3, first 2 shown]
	v_fma_f32 v46, -0.5, v36, v16
	v_sub_f32_e32 v16, v20, v24
	v_fmamk_f32 v50, v16, 0xbf5db3d7, v46
	v_fmac_f32_e32 v46, 0x3f5db3d7, v16
	v_add_f32_e32 v16, v17, v20
	v_add_f32_e32 v41, v16, v24
	;; [unrolled: 1-line block ×3, first 2 shown]
	v_fma_f32 v47, -0.5, v16, v17
	v_sub_f32_e32 v16, v60, v21
	v_add_f32_e32 v17, v76, v78
	v_sub_f32_e32 v60, v79, v84
	v_fmamk_f32 v51, v16, 0x3f5db3d7, v47
	v_fmac_f32_e32 v47, 0xbf5db3d7, v16
	v_add_f32_e32 v16, v18, v25
	v_add_f32_e32 v54, v16, v23
	;; [unrolled: 1-line block ×3, first 2 shown]
	v_fma_f32 v18, -0.5, v16, v18
	v_sub_f32_e32 v16, v22, v26
	v_fmamk_f32 v56, v16, 0xbf5db3d7, v18
	v_fmac_f32_e32 v18, 0x3f5db3d7, v16
	v_add_f32_e32 v16, v19, v22
	v_add_f32_e32 v55, v16, v26
	;; [unrolled: 1-line block ×3, first 2 shown]
	v_fmac_f32_e32 v19, -0.5, v16
	v_sub_f32_e32 v16, v25, v23
	v_fmamk_f32 v57, v16, 0x3f5db3d7, v19
	v_fmac_f32_e32 v19, 0xbf5db3d7, v16
	v_add_f32_e32 v16, v12, v27
	v_add_f32_e32 v38, v16, v29
	;; [unrolled: 1-line block ×3, first 2 shown]
	v_fma_f32 v48, -0.5, v16, v12
	v_sub_f32_e32 v12, v28, v32
	v_fmamk_f32 v58, v12, 0xbf5db3d7, v48
	v_fmac_f32_e32 v48, 0x3f5db3d7, v12
	v_add_f32_e32 v12, v13, v28
	v_add_f32_e32 v39, v12, v32
	;; [unrolled: 1-line block ×3, first 2 shown]
	v_sub_f32_e32 v28, v75, v77
	v_fma_f32 v49, -0.5, v12, v13
	v_sub_f32_e32 v12, v27, v29
	v_add_f32_e32 v13, v75, v77
	v_add_f32_e32 v29, v79, v84
	v_fmamk_f32 v59, v12, 0x3f5db3d7, v49
	v_fmac_f32_e32 v49, 0xbf5db3d7, v12
	v_add_f32_e32 v12, v14, v33
	ds_write_b64 v80, v[50:51] offset:10800
	ds_write_b64 v80, v[46:47] offset:21600
	ds_write2_b64 v80, v[40:41], v[54:55] offset1:135
	ds_write2_b64 v88, v[56:57], v[58:59] offset0:77 offset1:212
	v_add_nc_u32_e32 v40, 0x5800, v80
	v_add_f32_e32 v42, v12, v31
	v_add_f32_e32 v12, v33, v31
	v_fma_f32 v14, -0.5, v12, v14
	v_sub_f32_e32 v12, v30, v34
	v_fmamk_f32 v44, v12, 0xbf5db3d7, v14
	v_fmac_f32_e32 v14, 0x3f5db3d7, v12
	v_add_f32_e32 v12, v15, v30
	v_add_f32_e32 v43, v12, v34
	;; [unrolled: 1-line block ×3, first 2 shown]
	ds_write2_b64 v40, v[18:19], v[48:49] offset0:19 offset1:154
	ds_write2_b64 v250, v[38:39], v[42:43] offset0:14 offset1:149
	v_add_nc_u32_e32 v19, 0x3400, v80
	v_fmac_f32_e32 v15, -0.5, v12
	v_sub_f32_e32 v12, v33, v31
	v_add_f32_e32 v31, v81, v85
	v_fmamk_f32 v45, v12, 0x3f5db3d7, v15
	v_fmac_f32_e32 v15, 0xbf5db3d7, v12
	v_add_f32_e32 v12, v8, v35
	v_add_f32_e32 v24, v12, v61
	;; [unrolled: 1-line block ×3, first 2 shown]
	v_fma_f32 v36, -0.5, v12, v8
	v_sub_f32_e32 v8, v37, v62
	v_sub_f32_e32 v12, v63, v65
	v_fmamk_f32 v52, v8, 0xbf5db3d7, v36
	v_fmac_f32_e32 v36, 0x3f5db3d7, v8
	v_add_f32_e32 v8, v9, v37
	v_add_f32_e32 v25, v8, v62
	;; [unrolled: 1-line block ×3, first 2 shown]
	v_fma_f32 v37, -0.5, v8, v9
	v_sub_f32_e32 v8, v35, v61
	v_sub_f32_e32 v9, v64, v66
	v_fmamk_f32 v53, v8, 0x3f5db3d7, v37
	v_fmac_f32_e32 v37, 0xbf5db3d7, v8
	v_add_f32_e32 v8, v10, v63
	ds_write2_b64 v19, v[44:45], v[52:53] offset0:91 offset1:226
	v_add_nc_u32_e32 v19, 0x6000, v80
	v_add_f32_e32 v34, v8, v65
	v_add_f32_e32 v8, v63, v65
	v_fma_f32 v10, -0.5, v8, v10
	v_fmamk_f32 v8, v9, 0xbf5db3d7, v10
	v_fmac_f32_e32 v10, 0x3f5db3d7, v9
	v_add_f32_e32 v9, v11, v64
	v_add_f32_e32 v35, v9, v66
	v_add_f32_e32 v9, v64, v66
	v_fmac_f32_e32 v11, -0.5, v9
	v_fmamk_f32 v9, v12, 0x3f5db3d7, v11
	v_fmac_f32_e32 v11, 0xbf5db3d7, v12
	v_add_f32_e32 v12, v4, v67
	ds_write2_b64 v19, v[14:15], v[36:37] offset0:33 offset1:168
	ds_write2_b64 v82, v[24:25], v[34:35] offset0:28 offset1:163
	ds_write_b64 v80, v[10:11] offset:27000
	v_add_nc_u32_e32 v10, 0x3c00, v80
	v_add_f32_e32 v20, v12, v69
	v_add_f32_e32 v12, v67, v69
	v_fma_f32 v22, -0.5, v12, v4
	v_sub_f32_e32 v4, v68, v70
	v_sub_f32_e32 v12, v71, v73
	v_fmamk_f32 v26, v4, 0xbf5db3d7, v22
	v_fmac_f32_e32 v22, 0x3f5db3d7, v4
	v_add_f32_e32 v4, v5, v68
	v_add_f32_e32 v21, v4, v70
	;; [unrolled: 1-line block ×3, first 2 shown]
	v_fma_f32 v23, -0.5, v4, v5
	v_sub_f32_e32 v4, v67, v69
	v_sub_f32_e32 v5, v72, v74
	v_fmamk_f32 v27, v4, 0x3f5db3d7, v23
	v_fmac_f32_e32 v23, 0xbf5db3d7, v4
	v_add_f32_e32 v4, v6, v71
	v_add_f32_e32 v32, v4, v73
	;; [unrolled: 1-line block ×3, first 2 shown]
	v_fma_f32 v6, -0.5, v4, v6
	v_fmamk_f32 v4, v5, 0xbf5db3d7, v6
	v_fmac_f32_e32 v6, 0x3f5db3d7, v5
	v_add_f32_e32 v5, v7, v72
	v_add_f32_e32 v33, v5, v74
	;; [unrolled: 1-line block ×3, first 2 shown]
	v_fmac_f32_e32 v7, -0.5, v5
	v_fmamk_f32 v5, v12, 0x3f5db3d7, v7
	v_fmac_f32_e32 v7, 0xbf5db3d7, v12
	v_add_f32_e32 v12, v0, v75
	v_fma_f32 v0, -0.5, v13, v0
	v_sub_f32_e32 v13, v76, v78
	ds_write2_b64 v10, v[8:9], v[26:27] offset0:105 offset1:240
	ds_write2_b64 v251, v[20:21], v[32:33] offset0:42 offset1:177
	;; [unrolled: 1-line block ×3, first 2 shown]
	v_add_nc_u32_e32 v6, 0x4400, v80
	v_add_f32_e32 v12, v12, v77
	v_fmamk_f32 v16, v13, 0xbf5db3d7, v0
	v_fmac_f32_e32 v0, 0x3f5db3d7, v13
	v_add_f32_e32 v13, v1, v76
	v_fma_f32 v1, -0.5, v17, v1
	v_add_f32_e32 v13, v13, v78
	v_fmamk_f32 v17, v28, 0x3f5db3d7, v1
	v_fmac_f32_e32 v1, 0xbf5db3d7, v28
	v_add_f32_e32 v28, v2, v79
	v_fma_f32 v2, -0.5, v29, v2
	v_sub_f32_e32 v29, v81, v85
	v_add_f32_e32 v28, v28, v84
	v_fmamk_f32 v30, v29, 0xbf5db3d7, v2
	v_fmac_f32_e32 v2, 0x3f5db3d7, v29
	v_add_f32_e32 v29, v3, v81
	v_fmac_f32_e32 v3, -0.5, v31
	v_add_f32_e32 v29, v29, v85
	v_fmamk_f32 v31, v60, 0x3f5db3d7, v3
	v_fmac_f32_e32 v3, 0xbf5db3d7, v60
	ds_write2_b64 v6, v[4:5], v[16:17] offset0:119 offset1:254
	ds_write2_b64 v83, v[12:13], v[28:29] offset0:56 offset1:191
	ds_write_b64 v80, v[30:31] offset:20520
	ds_write2_b64 v228, v[0:1], v[2:3] offset0:68 offset1:203
	s_waitcnt lgkmcnt(0)
	s_barrier
	buffer_gl0_inv
	ds_read2_b64 v[20:23], v80 offset1:135
	s_clause 0x2
	buffer_load_dword v1, off, s[20:23], 0 offset:224
	buffer_load_dword v2, off, s[20:23], 0 offset:228
	;; [unrolled: 1-line block ×3, first 2 shown]
	s_waitcnt vmcnt(1) lgkmcnt(0)
	v_mul_f32_e32 v0, v2, v21
	v_mov_b32_e32 v3, v2
	v_mov_b32_e32 v2, v1
	v_fmac_f32_e32 v0, v1, v20
	v_cvt_f64_f32_e32 v[0:1], v0
	v_mul_f64 v[0:1], v[0:1], s[2:3]
	v_cvt_f32_f64_e32 v0, v[0:1]
	v_mul_f32_e32 v1, v3, v20
	v_fma_f32 v1, v2, v21, -v1
	v_cvt_f64_f32_e32 v[1:2], v1
	v_mul_f64 v[1:2], v[1:2], s[2:3]
	v_cvt_f32_f64_e32 v1, v[1:2]
	s_waitcnt vmcnt(0)
	v_mad_u64_u32 v[2:3], null, s0, v4, 0
	v_mad_u64_u32 v[3:4], null, s1, v4, v[3:4]
	s_clause 0x1
	buffer_load_dword v4, off, s[20:23], 0 offset:160
	buffer_load_dword v5, off, s[20:23], 0 offset:164
	ds_read2_b64 v[16:19], v250 offset0:14 offset1:149
	s_mulk_i32 s1, 0x9250
	s_sub_i32 s1, s1, s0
	v_lshlrev_b64 v[2:3], 3, v[2:3]
	s_waitcnt vmcnt(0)
	v_lshlrev_b64 v[4:5], 3, v[4:5]
	v_add_co_u32 v4, vcc_lo, s12, v4
	v_add_co_ci_u32_e32 v5, vcc_lo, s13, v5, vcc_lo
	v_add_co_u32 v2, vcc_lo, v4, v2
	v_add_co_ci_u32_e32 v3, vcc_lo, v5, v3, vcc_lo
	global_store_dwordx2 v[2:3], v[0:1], off
	s_clause 0x1
	buffer_load_dword v4, off, s[20:23], 0 offset:216
	buffer_load_dword v5, off, s[20:23], 0 offset:220
	v_add_co_u32 v2, vcc_lo, v2, s5
	v_add_co_ci_u32_e32 v3, vcc_lo, s4, v3, vcc_lo
	ds_read2_b64 v[34:37], v251 offset0:42 offset1:177
	s_waitcnt vmcnt(0) lgkmcnt(1)
	v_mul_f32_e32 v0, v5, v19
	v_fmac_f32_e32 v0, v4, v18
	v_cvt_f64_f32_e32 v[0:1], v0
	v_mul_f64 v[0:1], v[0:1], s[2:3]
	v_cvt_f32_f64_e32 v0, v[0:1]
	v_mul_f32_e32 v1, v5, v18
	v_fma_f32 v1, v4, v19, -v1
	v_cvt_f64_f32_e32 v[4:5], v1
	v_mul_f64 v[4:5], v[4:5], s[2:3]
	v_cvt_f32_f64_e32 v1, v[4:5]
	global_store_dwordx2 v[2:3], v[0:1], off
	s_clause 0x1
	buffer_load_dword v4, off, s[20:23], 0 offset:208
	buffer_load_dword v5, off, s[20:23], 0 offset:212
	v_add_co_u32 v2, vcc_lo, v2, s5
	v_add_co_ci_u32_e32 v3, vcc_lo, s4, v3, vcc_lo
	ds_read2_b64 v[12:15], v83 offset0:56 offset1:191
	s_waitcnt vmcnt(0) lgkmcnt(1)
	v_mul_f32_e32 v0, v5, v35
	v_fmac_f32_e32 v0, v4, v34
	v_cvt_f64_f32_e32 v[0:1], v0
	v_mul_f64 v[0:1], v[0:1], s[2:3]
	v_cvt_f32_f64_e32 v0, v[0:1]
	v_mul_f32_e32 v1, v5, v34
	v_fma_f32 v1, v4, v35, -v1
	v_cvt_f64_f32_e32 v[4:5], v1
	v_mul_f64 v[4:5], v[4:5], s[2:3]
	v_cvt_f32_f64_e32 v1, v[4:5]
	global_store_dwordx2 v[2:3], v[0:1], off
	s_clause 0x1
	buffer_load_dword v4, off, s[20:23], 0 offset:240
	buffer_load_dword v5, off, s[20:23], 0 offset:244
	v_add_co_u32 v2, vcc_lo, v2, s5
	v_add_co_ci_u32_e32 v3, vcc_lo, s4, v3, vcc_lo
	ds_read2_b64 v[24:27], v255 offset0:84 offset1:219
	s_waitcnt vmcnt(0) lgkmcnt(1)
	v_mul_f32_e32 v0, v5, v15
	v_fmac_f32_e32 v0, v4, v14
	v_cvt_f64_f32_e32 v[0:1], v0
	v_mul_f64 v[0:1], v[0:1], s[2:3]
	v_cvt_f32_f64_e32 v0, v[0:1]
	v_mul_f32_e32 v1, v5, v14
	v_fma_f32 v1, v4, v15, -v1
	v_cvt_f64_f32_e32 v[4:5], v1
	v_mul_f64 v[4:5], v[4:5], s[2:3]
	v_cvt_f32_f64_e32 v1, v[4:5]
	global_store_dwordx2 v[2:3], v[0:1], off
	s_clause 0x1
	buffer_load_dword v4, off, s[20:23], 0 offset:232
	buffer_load_dword v5, off, s[20:23], 0 offset:236
	v_add_co_u32 v2, vcc_lo, v2, s5
	v_add_co_ci_u32_e32 v3, vcc_lo, s4, v3, vcc_lo
	ds_read2_b64 v[8:11], v253 offset0:98 offset1:233
	s_waitcnt vmcnt(0) lgkmcnt(1)
	v_mul_f32_e32 v0, v5, v25
	v_fmac_f32_e32 v0, v4, v24
	v_cvt_f64_f32_e32 v[0:1], v0
	v_mul_f64 v[0:1], v[0:1], s[2:3]
	v_cvt_f32_f64_e32 v0, v[0:1]
	v_mul_f32_e32 v1, v5, v24
	v_fma_f32 v1, v4, v25, -v1
	v_cvt_f64_f32_e32 v[4:5], v1
	v_mul_f64 v[4:5], v[4:5], s[2:3]
	v_cvt_f32_f64_e32 v1, v[4:5]
	global_store_dwordx2 v[2:3], v[0:1], off
	s_clause 0x1
	buffer_load_dword v4, off, s[20:23], 0 offset:200
	buffer_load_dword v5, off, s[20:23], 0 offset:204
	v_add_co_u32 v2, vcc_lo, v2, s5
	v_add_co_ci_u32_e32 v3, vcc_lo, s4, v3, vcc_lo
	ds_read2_b64 v[18:21], v252 offset0:62 offset1:197
	s_waitcnt vmcnt(0) lgkmcnt(1)
	v_mul_f32_e32 v0, v5, v11
	v_fmac_f32_e32 v0, v4, v10
	v_cvt_f64_f32_e32 v[0:1], v0
	v_mul_f64 v[0:1], v[0:1], s[2:3]
	v_cvt_f32_f64_e32 v0, v[0:1]
	v_mul_f32_e32 v1, v5, v10
	v_fma_f32 v1, v4, v11, -v1
	v_cvt_f64_f32_e32 v[4:5], v1
	v_mul_f64 v[4:5], v[4:5], s[2:3]
	v_cvt_f32_f64_e32 v1, v[4:5]
	global_store_dwordx2 v[2:3], v[0:1], off
	s_clause 0x1
	buffer_load_dword v4, off, s[20:23], 0 offset:192
	buffer_load_dword v5, off, s[20:23], 0 offset:196
	v_add_co_u32 v2, vcc_lo, v2, s5
	v_add_co_ci_u32_e32 v3, vcc_lo, s4, v3, vcc_lo
	s_waitcnt vmcnt(0) lgkmcnt(0)
	v_mul_f32_e32 v0, v5, v19
	v_fmac_f32_e32 v0, v4, v18
	v_cvt_f64_f32_e32 v[0:1], v0
	v_mul_f64 v[0:1], v[0:1], s[2:3]
	v_cvt_f32_f64_e32 v0, v[0:1]
	v_mul_f32_e32 v1, v5, v18
	v_fma_f32 v1, v4, v19, -v1
	v_cvt_f64_f32_e32 v[4:5], v1
	v_mul_f64 v[4:5], v[4:5], s[2:3]
	v_cvt_f32_f64_e32 v1, v[4:5]
	ds_read2_b64 v[4:7], v220 offset0:12 offset1:147
	global_store_dwordx2 v[2:3], v[0:1], off
	s_clause 0x1
	buffer_load_dword v10, off, s[20:23], 0 offset:184
	buffer_load_dword v11, off, s[20:23], 0 offset:188
	v_add_co_u32 v2, vcc_lo, v2, s5
	v_add_co_ci_u32_e32 v3, vcc_lo, s4, v3, vcc_lo
	ds_read2_b64 v[28:31], v221 offset0:40 offset1:175
	s_waitcnt vmcnt(0) lgkmcnt(1)
	v_mul_f32_e32 v0, v11, v7
	v_fmac_f32_e32 v0, v10, v6
	v_cvt_f64_f32_e32 v[0:1], v0
	v_mul_f64 v[0:1], v[0:1], s[2:3]
	v_cvt_f32_f64_e32 v0, v[0:1]
	v_mul_f32_e32 v1, v11, v6
	v_fma_f32 v1, v10, v7, -v1
	v_cvt_f64_f32_e32 v[6:7], v1
	v_mul_f64 v[6:7], v[6:7], s[2:3]
	v_cvt_f32_f64_e32 v1, v[6:7]
	global_store_dwordx2 v[2:3], v[0:1], off
	s_clause 0x1
	buffer_load_dword v6, off, s[20:23], 0 offset:176
	buffer_load_dword v7, off, s[20:23], 0 offset:180
	s_waitcnt vmcnt(0) lgkmcnt(0)
	v_mul_f32_e32 v0, v7, v29
	v_fmac_f32_e32 v0, v6, v28
	v_cvt_f64_f32_e32 v[0:1], v0
	v_mul_f64 v[0:1], v[0:1], s[2:3]
	v_cvt_f32_f64_e32 v0, v[0:1]
	v_mul_f32_e32 v1, v7, v28
	v_fma_f32 v1, v6, v29, -v1
	v_cvt_f64_f32_e32 v[6:7], v1
	v_mul_f64 v[6:7], v[6:7], s[2:3]
	v_cvt_f32_f64_e32 v1, v[6:7]
	v_add_co_u32 v6, vcc_lo, v2, s5
	v_add_co_ci_u32_e32 v7, vcc_lo, s4, v3, vcc_lo
	global_store_dwordx2 v[6:7], v[0:1], off
	ds_read2_b64 v[0:3], v254 offset0:54 offset1:189
	s_clause 0x1
	buffer_load_dword v14, off, s[20:23], 0 offset:168
	buffer_load_dword v15, off, s[20:23], 0 offset:172
	s_waitcnt vmcnt(0) lgkmcnt(0)
	v_mul_f32_e32 v10, v15, v3
	v_fmac_f32_e32 v10, v14, v2
	v_mul_f32_e32 v2, v15, v2
	v_cvt_f64_f32_e32 v[10:11], v10
	v_fma_f32 v2, v14, v3, -v2
	v_cvt_f64_f32_e32 v[2:3], v2
	v_mul_f64 v[10:11], v[10:11], s[2:3]
	v_mul_f64 v[2:3], v[2:3], s[2:3]
	v_cvt_f32_f64_e32 v10, v[10:11]
	v_cvt_f32_f64_e32 v11, v[2:3]
	v_add_co_u32 v2, vcc_lo, v6, s5
	v_add_co_ci_u32_e32 v3, vcc_lo, s4, v7, vcc_lo
	global_store_dwordx2 v[2:3], v[10:11], off
	s_clause 0x1
	buffer_load_dword v10, off, s[20:23], 0 offset:128
	buffer_load_dword v11, off, s[20:23], 0 offset:132
	v_mad_u64_u32 v[2:3], null, 0xffff9250, s0, v[2:3]
	ds_read2_b64 v[32:35], v82 offset0:28 offset1:163
	v_add_nc_u32_e32 v3, s1, v3
	s_waitcnt vmcnt(0)
	v_mul_f32_e32 v6, v11, v23
	v_fmac_f32_e32 v6, v10, v22
	v_cvt_f64_f32_e32 v[6:7], v6
	v_mul_f64 v[6:7], v[6:7], s[2:3]
	v_cvt_f32_f64_e32 v6, v[6:7]
	v_mul_f32_e32 v7, v11, v22
	v_fma_f32 v7, v10, v23, -v7
	v_cvt_f64_f32_e32 v[10:11], v7
	v_mul_f64 v[10:11], v[10:11], s[2:3]
	v_cvt_f32_f64_e32 v7, v[10:11]
	global_store_dwordx2 v[2:3], v[6:7], off
	s_clause 0x1
	buffer_load_dword v10, off, s[20:23], 0 offset:152
	buffer_load_dword v11, off, s[20:23], 0 offset:156
	v_add_co_u32 v2, vcc_lo, v2, s5
	v_add_co_ci_u32_e32 v3, vcc_lo, s4, v3, vcc_lo
	s_waitcnt vmcnt(0) lgkmcnt(0)
	v_mul_f32_e32 v6, v11, v33
	v_fmac_f32_e32 v6, v10, v32
	v_cvt_f64_f32_e32 v[6:7], v6
	v_mul_f64 v[6:7], v[6:7], s[2:3]
	v_cvt_f32_f64_e32 v6, v[6:7]
	v_mul_f32_e32 v7, v11, v32
	v_fma_f32 v7, v10, v33, -v7
	v_cvt_f64_f32_e32 v[10:11], v7
	v_mul_f64 v[10:11], v[10:11], s[2:3]
	v_cvt_f32_f64_e32 v7, v[10:11]
	global_store_dwordx2 v[2:3], v[6:7], off
	s_clause 0x1
	buffer_load_dword v10, off, s[20:23], 0 offset:136
	buffer_load_dword v11, off, s[20:23], 0 offset:140
	v_add_co_u32 v2, vcc_lo, v2, s5
	v_add_co_ci_u32_e32 v3, vcc_lo, s4, v3, vcc_lo
	ds_read2_b64 v[22:25], v235 offset0:70 offset1:205
	s_waitcnt vmcnt(0)
	v_mul_f32_e32 v6, v11, v37
	v_fmac_f32_e32 v6, v10, v36
	v_cvt_f64_f32_e32 v[6:7], v6
	v_mul_f64 v[6:7], v[6:7], s[2:3]
	v_cvt_f32_f64_e32 v6, v[6:7]
	v_mul_f32_e32 v7, v11, v36
	v_fma_f32 v7, v10, v37, -v7
	v_cvt_f64_f32_e32 v[10:11], v7
	v_mul_f64 v[10:11], v[10:11], s[2:3]
	v_cvt_f32_f64_e32 v7, v[10:11]
	global_store_dwordx2 v[2:3], v[6:7], off
	s_clause 0x1
	buffer_load_dword v10, off, s[20:23], 0 offset:144
	buffer_load_dword v11, off, s[20:23], 0 offset:148
	v_add_co_u32 v2, vcc_lo, v2, s5
	v_add_co_ci_u32_e32 v3, vcc_lo, s4, v3, vcc_lo
	s_waitcnt vmcnt(0) lgkmcnt(0)
	v_mul_f32_e32 v6, v11, v23
	v_fmac_f32_e32 v6, v10, v22
	v_cvt_f64_f32_e32 v[6:7], v6
	v_mul_f64 v[6:7], v[6:7], s[2:3]
	v_cvt_f32_f64_e32 v6, v[6:7]
	v_mul_f32_e32 v7, v11, v22
	v_fma_f32 v7, v10, v23, -v7
	v_cvt_f64_f32_e32 v[10:11], v7
	v_mul_f64 v[10:11], v[10:11], s[2:3]
	v_cvt_f32_f64_e32 v7, v[10:11]
	global_store_dwordx2 v[2:3], v[6:7], off
	s_clause 0x1
	buffer_load_dword v10, off, s[20:23], 0 offset:112
	buffer_load_dword v11, off, s[20:23], 0 offset:116
	v_add_co_u32 v2, vcc_lo, v2, s5
	v_add_co_ci_u32_e32 v3, vcc_lo, s4, v3, vcc_lo
	s_waitcnt vmcnt(0)
	v_mul_f32_e32 v6, v11, v27
	v_fmac_f32_e32 v6, v10, v26
	v_cvt_f64_f32_e32 v[6:7], v6
	v_mul_f64 v[6:7], v[6:7], s[2:3]
	v_cvt_f32_f64_e32 v6, v[6:7]
	v_mul_f32_e32 v7, v11, v26
	v_fma_f32 v7, v10, v27, -v7
	ds_read2_b64 v[26:29], v234 offset0:112 offset1:247
	v_cvt_f64_f32_e32 v[10:11], v7
	v_mul_f64 v[10:11], v[10:11], s[2:3]
	v_cvt_f32_f64_e32 v7, v[10:11]
	global_store_dwordx2 v[2:3], v[6:7], off
	s_clause 0x1
	buffer_load_dword v10, off, s[20:23], 0 offset:120
	buffer_load_dword v11, off, s[20:23], 0 offset:124
	v_add_co_u32 v2, vcc_lo, v2, s5
	v_add_co_ci_u32_e32 v3, vcc_lo, s4, v3, vcc_lo
	s_waitcnt vmcnt(0) lgkmcnt(0)
	v_mul_f32_e32 v6, v11, v27
	v_fmac_f32_e32 v6, v10, v26
	v_cvt_f64_f32_e32 v[6:7], v6
	v_mul_f64 v[6:7], v[6:7], s[2:3]
	v_cvt_f32_f64_e32 v6, v[6:7]
	v_mul_f32_e32 v7, v11, v26
	v_fma_f32 v7, v10, v27, -v7
	v_cvt_f64_f32_e32 v[10:11], v7
	v_mul_f64 v[10:11], v[10:11], s[2:3]
	v_cvt_f32_f64_e32 v7, v[10:11]
	global_store_dwordx2 v[2:3], v[6:7], off
	s_clause 0x1
	buffer_load_dword v10, off, s[20:23], 0 offset:96
	buffer_load_dword v11, off, s[20:23], 0 offset:100
	v_add_co_u32 v2, vcc_lo, v2, s5
	v_add_co_ci_u32_e32 v3, vcc_lo, s4, v3, vcc_lo
	s_waitcnt vmcnt(0)
	v_mul_f32_e32 v6, v11, v21
	v_fmac_f32_e32 v6, v10, v20
	v_cvt_f64_f32_e32 v[6:7], v6
	v_mul_f64 v[6:7], v[6:7], s[2:3]
	v_cvt_f32_f64_e32 v6, v[6:7]
	v_mul_f32_e32 v7, v11, v20
	v_fma_f32 v7, v10, v21, -v7
	ds_read2_b64 v[20:23], v231 offset0:26 offset1:161
	v_cvt_f64_f32_e32 v[10:11], v7
	v_mul_f64 v[10:11], v[10:11], s[2:3]
	v_cvt_f32_f64_e32 v7, v[10:11]
	global_store_dwordx2 v[2:3], v[6:7], off
	s_clause 0x1
	buffer_load_dword v10, off, s[20:23], 0 offset:88
	buffer_load_dword v11, off, s[20:23], 0 offset:92
	v_add_co_u32 v2, vcc_lo, v2, s5
	v_add_co_ci_u32_e32 v3, vcc_lo, s4, v3, vcc_lo
	s_waitcnt vmcnt(0) lgkmcnt(0)
	v_mul_f32_e32 v6, v11, v21
	v_fmac_f32_e32 v6, v10, v20
	v_cvt_f64_f32_e32 v[6:7], v6
	v_mul_f64 v[6:7], v[6:7], s[2:3]
	v_cvt_f32_f64_e32 v6, v[6:7]
	v_mul_f32_e32 v7, v11, v20
	v_fma_f32 v7, v10, v21, -v7
	v_cvt_f64_f32_e32 v[10:11], v7
	v_mul_f64 v[10:11], v[10:11], s[2:3]
	v_cvt_f32_f64_e32 v7, v[10:11]
	global_store_dwordx2 v[2:3], v[6:7], off
	s_clause 0x1
	buffer_load_dword v10, off, s[20:23], 0 offset:104
	buffer_load_dword v11, off, s[20:23], 0 offset:108
	v_add_co_u32 v2, vcc_lo, v2, s5
	v_add_co_ci_u32_e32 v3, vcc_lo, s4, v3, vcc_lo
	ds_read2_b64 v[18:21], v228 offset0:68 offset1:203
	s_waitcnt vmcnt(0)
	v_mul_f32_e32 v6, v11, v31
	v_fmac_f32_e32 v6, v10, v30
	v_cvt_f64_f32_e32 v[6:7], v6
	v_mul_f64 v[6:7], v[6:7], s[2:3]
	v_cvt_f32_f64_e32 v6, v[6:7]
	v_mul_f32_e32 v7, v11, v30
	v_fma_f32 v7, v10, v31, -v7
	v_cvt_f64_f32_e32 v[10:11], v7
	v_mul_f64 v[10:11], v[10:11], s[2:3]
	v_cvt_f32_f64_e32 v7, v[10:11]
	global_store_dwordx2 v[2:3], v[6:7], off
	s_clause 0x1
	buffer_load_dword v10, off, s[20:23], 0 offset:80
	buffer_load_dword v11, off, s[20:23], 0 offset:84
	v_add_co_u32 v2, vcc_lo, v2, s5
	v_add_co_ci_u32_e32 v3, vcc_lo, s4, v3, vcc_lo
	s_waitcnt vmcnt(0) lgkmcnt(0)
	v_mul_f32_e32 v6, v11, v19
	v_fmac_f32_e32 v6, v10, v18
	v_cvt_f64_f32_e32 v[6:7], v6
	v_mul_f64 v[6:7], v[6:7], s[2:3]
	v_cvt_f32_f64_e32 v6, v[6:7]
	v_mul_f32_e32 v7, v11, v18
	v_fma_f32 v7, v10, v19, -v7
	v_cvt_f64_f32_e32 v[10:11], v7
	v_mul_f64 v[10:11], v[10:11], s[2:3]
	v_cvt_f32_f64_e32 v7, v[10:11]
	global_store_dwordx2 v[2:3], v[6:7], off
	s_clause 0x1
	buffer_load_dword v10, off, s[20:23], 0 offset:72
	buffer_load_dword v11, off, s[20:23], 0 offset:76
	v_mad_u64_u32 v[2:3], null, 0xffff9250, s0, v[2:3]
	v_add_nc_u32_e32 v3, s1, v3
	s_waitcnt vmcnt(0)
	v_mul_f32_e32 v6, v11, v17
	v_fmac_f32_e32 v6, v10, v16
	v_cvt_f64_f32_e32 v[6:7], v6
	v_mul_f64 v[6:7], v[6:7], s[2:3]
	v_cvt_f32_f64_e32 v6, v[6:7]
	v_mul_f32_e32 v7, v11, v16
	v_fma_f32 v7, v10, v17, -v7
	v_cvt_f64_f32_e32 v[10:11], v7
	v_mul_f64 v[10:11], v[10:11], s[2:3]
	v_cvt_f32_f64_e32 v7, v[10:11]
	global_store_dwordx2 v[2:3], v[6:7], off
	s_clause 0x1
	buffer_load_dword v10, off, s[20:23], 0 offset:64
	buffer_load_dword v11, off, s[20:23], 0 offset:68
	v_add_co_u32 v2, vcc_lo, v2, s5
	v_add_co_ci_u32_e32 v3, vcc_lo, s4, v3, vcc_lo
	s_waitcnt vmcnt(0)
	v_mul_f32_e32 v6, v11, v35
	v_fmac_f32_e32 v6, v10, v34
	v_cvt_f64_f32_e32 v[6:7], v6
	v_mul_f64 v[6:7], v[6:7], s[2:3]
	v_cvt_f32_f64_e32 v6, v[6:7]
	v_mul_f32_e32 v7, v11, v34
	v_fma_f32 v7, v10, v35, -v7
	v_cvt_f64_f32_e32 v[10:11], v7
	v_mul_f64 v[10:11], v[10:11], s[2:3]
	v_cvt_f32_f64_e32 v7, v[10:11]
	global_store_dwordx2 v[2:3], v[6:7], off
	s_clause 0x1
	buffer_load_dword v10, off, s[20:23], 0 offset:48
	buffer_load_dword v11, off, s[20:23], 0 offset:52
	v_add_co_u32 v2, vcc_lo, v2, s5
	v_add_co_ci_u32_e32 v3, vcc_lo, s4, v3, vcc_lo
	;; [unrolled: 17-line block ×5, first 2 shown]
	s_waitcnt vmcnt(0)
	v_mul_f32_e32 v6, v8, v29
	v_mov_b32_e32 v9, v8
	v_mov_b32_e32 v8, v7
	v_fmac_f32_e32 v6, v7, v28
	v_cvt_f64_f32_e32 v[6:7], v6
	v_mul_f64 v[6:7], v[6:7], s[2:3]
	v_cvt_f32_f64_e32 v6, v[6:7]
	v_mul_f32_e32 v7, v9, v28
	v_fma_f32 v7, v8, v29, -v7
	v_cvt_f64_f32_e32 v[7:8], v7
	v_mul_f64 v[7:8], v[7:8], s[2:3]
	v_cvt_f32_f64_e32 v7, v[7:8]
	global_store_dwordx2 v[2:3], v[6:7], off
	s_clause 0x1
	buffer_load_dword v7, off, s[20:23], 0 offset:16
	buffer_load_dword v8, off, s[20:23], 0 offset:20
	v_add_co_u32 v2, vcc_lo, v2, s5
	v_add_co_ci_u32_e32 v3, vcc_lo, s4, v3, vcc_lo
	s_waitcnt vmcnt(0)
	v_mul_f32_e32 v6, v8, v5
	v_mov_b32_e32 v9, v8
	v_mov_b32_e32 v8, v7
	v_fmac_f32_e32 v6, v7, v4
	v_mul_f32_e32 v4, v9, v4
	v_cvt_f64_f32_e32 v[6:7], v6
	v_fma_f32 v4, v8, v5, -v4
	v_cvt_f64_f32_e32 v[4:5], v4
	v_mul_f64 v[6:7], v[6:7], s[2:3]
	v_mul_f64 v[4:5], v[4:5], s[2:3]
	v_cvt_f32_f64_e32 v6, v[6:7]
	v_cvt_f32_f64_e32 v7, v[4:5]
	global_store_dwordx2 v[2:3], v[6:7], off
	s_clause 0x1
	buffer_load_dword v5, off, s[20:23], 0 offset:8
	buffer_load_dword v6, off, s[20:23], 0 offset:12
	v_add_co_u32 v2, vcc_lo, v2, s5
	v_add_co_ci_u32_e32 v3, vcc_lo, s4, v3, vcc_lo
	s_waitcnt vmcnt(0)
	v_mul_f32_e32 v4, v6, v23
	v_mov_b32_e32 v7, v6
	v_mov_b32_e32 v6, v5
	v_fmac_f32_e32 v4, v5, v22
	v_cvt_f64_f32_e32 v[4:5], v4
	v_mul_f64 v[4:5], v[4:5], s[2:3]
	v_cvt_f32_f64_e32 v4, v[4:5]
	v_mul_f32_e32 v5, v7, v22
	v_fma_f32 v5, v6, v23, -v5
	v_cvt_f64_f32_e32 v[5:6], v5
	v_mul_f64 v[5:6], v[5:6], s[2:3]
	v_cvt_f32_f64_e32 v5, v[5:6]
	global_store_dwordx2 v[2:3], v[4:5], off
	s_clause 0x1
	buffer_load_dword v5, off, s[20:23], 0
	buffer_load_dword v6, off, s[20:23], 0 offset:4
	s_waitcnt vmcnt(0)
	v_mul_f32_e32 v4, v6, v1
	v_mov_b32_e32 v7, v6
	v_mov_b32_e32 v6, v5
	v_fmac_f32_e32 v4, v5, v0
	v_mul_f32_e32 v0, v7, v0
	v_cvt_f64_f32_e32 v[4:5], v4
	v_fma_f32 v0, v6, v1, -v0
	v_cvt_f64_f32_e32 v[0:1], v0
	v_mul_f64 v[4:5], v[4:5], s[2:3]
	v_mul_f64 v[0:1], v[0:1], s[2:3]
	v_cvt_f32_f64_e32 v4, v[4:5]
	v_cvt_f32_f64_e32 v5, v[0:1]
	v_add_co_u32 v0, vcc_lo, v2, s5
	v_add_co_ci_u32_e32 v1, vcc_lo, s4, v3, vcc_lo
	global_store_dwordx2 v[0:1], v[4:5], off
	s_clause 0x1
	buffer_load_dword v3, off, s[20:23], 0 offset:56
	buffer_load_dword v4, off, s[20:23], 0 offset:60
	v_add_co_u32 v0, vcc_lo, v0, s5
	v_add_co_ci_u32_e32 v1, vcc_lo, s4, v1, vcc_lo
	s_waitcnt vmcnt(0)
	v_mul_f32_e32 v2, v4, v21
	v_mov_b32_e32 v5, v4
	v_mov_b32_e32 v4, v3
	v_fmac_f32_e32 v2, v3, v20
	v_cvt_f64_f32_e32 v[2:3], v2
	v_mul_f64 v[2:3], v[2:3], s[2:3]
	v_cvt_f32_f64_e32 v2, v[2:3]
	v_mul_f32_e32 v3, v5, v20
	v_fma_f32 v3, v4, v21, -v3
	v_cvt_f64_f32_e32 v[3:4], v3
	v_mul_f64 v[3:4], v[3:4], s[2:3]
	v_cvt_f32_f64_e32 v3, v[3:4]
	global_store_dwordx2 v[0:1], v[2:3], off
.LBB0_2:
	s_endpgm
	.section	.rodata,"a",@progbits
	.p2align	6, 0x0
	.amdhsa_kernel bluestein_single_fwd_len4050_dim1_sp_op_CI_CI
		.amdhsa_group_segment_fixed_size 32400
		.amdhsa_private_segment_fixed_size 592
		.amdhsa_kernarg_size 104
		.amdhsa_user_sgpr_count 6
		.amdhsa_user_sgpr_private_segment_buffer 1
		.amdhsa_user_sgpr_dispatch_ptr 0
		.amdhsa_user_sgpr_queue_ptr 0
		.amdhsa_user_sgpr_kernarg_segment_ptr 1
		.amdhsa_user_sgpr_dispatch_id 0
		.amdhsa_user_sgpr_flat_scratch_init 0
		.amdhsa_user_sgpr_private_segment_size 0
		.amdhsa_wavefront_size32 1
		.amdhsa_uses_dynamic_stack 0
		.amdhsa_system_sgpr_private_segment_wavefront_offset 1
		.amdhsa_system_sgpr_workgroup_id_x 1
		.amdhsa_system_sgpr_workgroup_id_y 0
		.amdhsa_system_sgpr_workgroup_id_z 0
		.amdhsa_system_sgpr_workgroup_info 0
		.amdhsa_system_vgpr_workitem_id 0
		.amdhsa_next_free_vgpr 256
		.amdhsa_next_free_sgpr 24
		.amdhsa_reserve_vcc 1
		.amdhsa_reserve_flat_scratch 0
		.amdhsa_float_round_mode_32 0
		.amdhsa_float_round_mode_16_64 0
		.amdhsa_float_denorm_mode_32 3
		.amdhsa_float_denorm_mode_16_64 3
		.amdhsa_dx10_clamp 1
		.amdhsa_ieee_mode 1
		.amdhsa_fp16_overflow 0
		.amdhsa_workgroup_processor_mode 1
		.amdhsa_memory_ordered 1
		.amdhsa_forward_progress 0
		.amdhsa_shared_vgpr_count 0
		.amdhsa_exception_fp_ieee_invalid_op 0
		.amdhsa_exception_fp_denorm_src 0
		.amdhsa_exception_fp_ieee_div_zero 0
		.amdhsa_exception_fp_ieee_overflow 0
		.amdhsa_exception_fp_ieee_underflow 0
		.amdhsa_exception_fp_ieee_inexact 0
		.amdhsa_exception_int_div_zero 0
	.end_amdhsa_kernel
	.text
.Lfunc_end0:
	.size	bluestein_single_fwd_len4050_dim1_sp_op_CI_CI, .Lfunc_end0-bluestein_single_fwd_len4050_dim1_sp_op_CI_CI
                                        ; -- End function
	.section	.AMDGPU.csdata,"",@progbits
; Kernel info:
; codeLenInByte = 36856
; NumSgprs: 26
; NumVgprs: 256
; ScratchSize: 592
; MemoryBound: 0
; FloatMode: 240
; IeeeMode: 1
; LDSByteSize: 32400 bytes/workgroup (compile time only)
; SGPRBlocks: 3
; VGPRBlocks: 31
; NumSGPRsForWavesPerEU: 26
; NumVGPRsForWavesPerEU: 256
; Occupancy: 4
; WaveLimiterHint : 1
; COMPUTE_PGM_RSRC2:SCRATCH_EN: 1
; COMPUTE_PGM_RSRC2:USER_SGPR: 6
; COMPUTE_PGM_RSRC2:TRAP_HANDLER: 0
; COMPUTE_PGM_RSRC2:TGID_X_EN: 1
; COMPUTE_PGM_RSRC2:TGID_Y_EN: 0
; COMPUTE_PGM_RSRC2:TGID_Z_EN: 0
; COMPUTE_PGM_RSRC2:TIDIG_COMP_CNT: 0
	.text
	.p2alignl 6, 3214868480
	.fill 48, 4, 3214868480
	.type	__hip_cuid_7c0835267454c6aa,@object ; @__hip_cuid_7c0835267454c6aa
	.section	.bss,"aw",@nobits
	.globl	__hip_cuid_7c0835267454c6aa
__hip_cuid_7c0835267454c6aa:
	.byte	0                               ; 0x0
	.size	__hip_cuid_7c0835267454c6aa, 1

	.ident	"AMD clang version 19.0.0git (https://github.com/RadeonOpenCompute/llvm-project roc-6.4.0 25133 c7fe45cf4b819c5991fe208aaa96edf142730f1d)"
	.section	".note.GNU-stack","",@progbits
	.addrsig
	.addrsig_sym __hip_cuid_7c0835267454c6aa
	.amdgpu_metadata
---
amdhsa.kernels:
  - .args:
      - .actual_access:  read_only
        .address_space:  global
        .offset:         0
        .size:           8
        .value_kind:     global_buffer
      - .actual_access:  read_only
        .address_space:  global
        .offset:         8
        .size:           8
        .value_kind:     global_buffer
      - .actual_access:  read_only
        .address_space:  global
        .offset:         16
        .size:           8
        .value_kind:     global_buffer
      - .actual_access:  read_only
        .address_space:  global
        .offset:         24
        .size:           8
        .value_kind:     global_buffer
      - .actual_access:  read_only
        .address_space:  global
        .offset:         32
        .size:           8
        .value_kind:     global_buffer
      - .offset:         40
        .size:           8
        .value_kind:     by_value
      - .address_space:  global
        .offset:         48
        .size:           8
        .value_kind:     global_buffer
      - .address_space:  global
        .offset:         56
        .size:           8
        .value_kind:     global_buffer
      - .address_space:  global
        .offset:         64
        .size:           8
        .value_kind:     global_buffer
      - .address_space:  global
        .offset:         72
        .size:           8
        .value_kind:     global_buffer
      - .offset:         80
        .size:           4
        .value_kind:     by_value
      - .address_space:  global
        .offset:         88
        .size:           8
        .value_kind:     global_buffer
      - .address_space:  global
        .offset:         96
        .size:           8
        .value_kind:     global_buffer
    .group_segment_fixed_size: 32400
    .kernarg_segment_align: 8
    .kernarg_segment_size: 104
    .language:       OpenCL C
    .language_version:
      - 2
      - 0
    .max_flat_workgroup_size: 135
    .name:           bluestein_single_fwd_len4050_dim1_sp_op_CI_CI
    .private_segment_fixed_size: 592
    .sgpr_count:     26
    .sgpr_spill_count: 0
    .symbol:         bluestein_single_fwd_len4050_dim1_sp_op_CI_CI.kd
    .uniform_work_group_size: 1
    .uses_dynamic_stack: false
    .vgpr_count:     256
    .vgpr_spill_count: 147
    .wavefront_size: 32
    .workgroup_processor_mode: 1
amdhsa.target:   amdgcn-amd-amdhsa--gfx1030
amdhsa.version:
  - 1
  - 2
...

	.end_amdgpu_metadata
